;; amdgpu-corpus repo=ROCm/rocFFT kind=compiled arch=gfx950 opt=O3
	.text
	.amdgcn_target "amdgcn-amd-amdhsa--gfx950"
	.amdhsa_code_object_version 6
	.protected	fft_rtc_fwd_len2016_factors_2_2_2_2_2_3_3_7_wgs_224_tpt_112_halfLds_sp_op_CI_CI_unitstride_sbrr_R2C_dirReg ; -- Begin function fft_rtc_fwd_len2016_factors_2_2_2_2_2_3_3_7_wgs_224_tpt_112_halfLds_sp_op_CI_CI_unitstride_sbrr_R2C_dirReg
	.globl	fft_rtc_fwd_len2016_factors_2_2_2_2_2_3_3_7_wgs_224_tpt_112_halfLds_sp_op_CI_CI_unitstride_sbrr_R2C_dirReg
	.p2align	8
	.type	fft_rtc_fwd_len2016_factors_2_2_2_2_2_3_3_7_wgs_224_tpt_112_halfLds_sp_op_CI_CI_unitstride_sbrr_R2C_dirReg,@function
fft_rtc_fwd_len2016_factors_2_2_2_2_2_3_3_7_wgs_224_tpt_112_halfLds_sp_op_CI_CI_unitstride_sbrr_R2C_dirReg: ; @fft_rtc_fwd_len2016_factors_2_2_2_2_2_3_3_7_wgs_224_tpt_112_halfLds_sp_op_CI_CI_unitstride_sbrr_R2C_dirReg
; %bb.0:
	s_load_dwordx4 s[4:7], s[0:1], 0x58
	s_load_dwordx4 s[8:11], s[0:1], 0x0
	;; [unrolled: 1-line block ×3, first 2 shown]
	v_mul_u32_u24_e32 v1, 0x24a, v0
	v_lshrrev_b32_e32 v1, 16, v1
	v_lshl_add_u32 v6, s2, 1, v1
	v_mov_b32_e32 v4, 0
	s_waitcnt lgkmcnt(0)
	v_cmp_lt_u64_e64 s[2:3], s[10:11], 2
	v_mov_b32_e32 v7, v4
	s_and_b64 vcc, exec, s[2:3]
	v_mov_b64_e32 v[2:3], 0
	s_cbranch_vccnz .LBB0_8
; %bb.1:
	s_load_dwordx2 s[2:3], s[0:1], 0x10
	s_add_u32 s16, s14, 8
	s_addc_u32 s17, s15, 0
	s_add_u32 s18, s12, 8
	s_addc_u32 s19, s13, 0
	s_waitcnt lgkmcnt(0)
	s_add_u32 s20, s2, 8
	v_mov_b64_e32 v[2:3], 0
	s_addc_u32 s21, s3, 0
	s_mov_b64 s[22:23], 1
	v_mov_b64_e32 v[28:29], v[2:3]
.LBB0_2:                                ; =>This Inner Loop Header: Depth=1
	s_load_dwordx2 s[24:25], s[20:21], 0x0
                                        ; implicit-def: $vgpr32_vgpr33
	s_waitcnt lgkmcnt(0)
	v_or_b32_e32 v5, s25, v7
	v_cmp_ne_u64_e32 vcc, 0, v[4:5]
	s_and_saveexec_b64 s[2:3], vcc
	s_xor_b64 s[26:27], exec, s[2:3]
	s_cbranch_execz .LBB0_4
; %bb.3:                                ;   in Loop: Header=BB0_2 Depth=1
	v_cvt_f32_u32_e32 v5, s24
	v_cvt_f32_u32_e32 v8, s25
	s_sub_u32 s2, 0, s24
	s_subb_u32 s3, 0, s25
	v_fmac_f32_e32 v5, 0x4f800000, v8
	v_rcp_f32_e32 v5, v5
	s_nop 0
	v_mul_f32_e32 v5, 0x5f7ffffc, v5
	v_mul_f32_e32 v8, 0x2f800000, v5
	v_trunc_f32_e32 v8, v8
	v_fmac_f32_e32 v5, 0xcf800000, v8
	v_cvt_u32_f32_e32 v12, v8
	v_cvt_u32_f32_e32 v5, v5
	v_mul_lo_u32 v8, s2, v12
	v_mul_hi_u32 v10, s2, v5
	v_mul_lo_u32 v9, s3, v5
	v_add_u32_e32 v10, v10, v8
	v_mul_lo_u32 v13, s2, v5
	v_add_u32_e32 v14, v10, v9
	v_mul_hi_u32 v8, v5, v13
	v_mul_hi_u32 v11, v5, v14
	v_mul_lo_u32 v10, v5, v14
	v_mov_b32_e32 v9, v4
	v_lshl_add_u64 v[8:9], v[8:9], 0, v[10:11]
	v_mul_hi_u32 v11, v12, v13
	v_mul_lo_u32 v13, v12, v13
	v_add_co_u32_e32 v8, vcc, v8, v13
	v_mul_hi_u32 v10, v12, v14
	s_nop 0
	v_addc_co_u32_e32 v8, vcc, v9, v11, vcc
	v_mov_b32_e32 v9, v4
	s_nop 0
	v_addc_co_u32_e32 v11, vcc, 0, v10, vcc
	v_mul_lo_u32 v10, v12, v14
	v_lshl_add_u64 v[8:9], v[8:9], 0, v[10:11]
	v_add_co_u32_e32 v5, vcc, v5, v8
	v_mul_lo_u32 v10, s2, v5
	s_nop 0
	v_addc_co_u32_e32 v12, vcc, v12, v9, vcc
	v_mul_lo_u32 v8, s2, v12
	v_mul_hi_u32 v9, s2, v5
	v_add_u32_e32 v8, v9, v8
	v_mul_lo_u32 v9, s3, v5
	v_add_u32_e32 v13, v8, v9
	v_mul_hi_u32 v15, v12, v10
	v_mul_lo_u32 v16, v12, v10
	v_mul_hi_u32 v9, v5, v13
	v_mul_lo_u32 v8, v5, v13
	v_mul_hi_u32 v10, v5, v10
	v_mov_b32_e32 v11, v4
	v_lshl_add_u64 v[8:9], v[10:11], 0, v[8:9]
	v_add_co_u32_e32 v8, vcc, v8, v16
	v_mul_hi_u32 v14, v12, v13
	s_nop 0
	v_addc_co_u32_e32 v8, vcc, v9, v15, vcc
	v_mul_lo_u32 v10, v12, v13
	s_nop 0
	v_addc_co_u32_e32 v11, vcc, 0, v14, vcc
	v_mov_b32_e32 v9, v4
	v_lshl_add_u64 v[8:9], v[8:9], 0, v[10:11]
	v_add_co_u32_e32 v5, vcc, v5, v8
	v_mul_hi_u32 v10, v6, v5
	s_nop 0
	v_addc_co_u32_e32 v12, vcc, v12, v9, vcc
	v_mad_u64_u32 v[8:9], s[2:3], v6, v12, 0
	v_mov_b32_e32 v11, v4
	v_lshl_add_u64 v[8:9], v[10:11], 0, v[8:9]
	v_mad_u64_u32 v[10:11], s[2:3], v7, v12, 0
	v_mad_u64_u32 v[12:13], s[2:3], v7, v5, 0
	v_add_co_u32_e32 v5, vcc, v8, v12
	s_nop 1
	v_addc_co_u32_e32 v8, vcc, v9, v13, vcc
	v_mov_b32_e32 v9, v4
	s_nop 0
	v_addc_co_u32_e32 v11, vcc, 0, v11, vcc
	v_lshl_add_u64 v[8:9], v[8:9], 0, v[10:11]
	v_mul_lo_u32 v5, s25, v8
	v_mul_lo_u32 v12, s24, v9
	v_mad_u64_u32 v[10:11], s[2:3], s24, v8, 0
	v_add3_u32 v5, v11, v12, v5
	v_sub_u32_e32 v11, v7, v5
	v_mov_b32_e32 v12, s25
	v_sub_co_u32_e32 v14, vcc, v6, v10
	s_nop 1
	v_subb_co_u32_e64 v10, s[2:3], v11, v12, vcc
	v_subrev_co_u32_e64 v11, s[2:3], s24, v14
	v_subb_co_u32_e32 v5, vcc, v7, v5, vcc
	s_nop 0
	v_subbrev_co_u32_e64 v10, s[2:3], 0, v10, s[2:3]
	v_cmp_le_u32_e64 s[2:3], s25, v10
	v_cmp_le_u32_e32 vcc, s25, v5
	s_nop 0
	v_cndmask_b32_e64 v12, 0, -1, s[2:3]
	v_cmp_le_u32_e64 s[2:3], s24, v11
	s_nop 1
	v_cndmask_b32_e64 v11, 0, -1, s[2:3]
	v_cmp_eq_u32_e64 s[2:3], s25, v10
	s_nop 1
	v_cndmask_b32_e64 v15, v12, v11, s[2:3]
	v_lshl_add_u64 v[10:11], v[8:9], 0, 2
	v_lshl_add_u64 v[12:13], v[8:9], 0, 1
	v_cmp_ne_u32_e64 s[2:3], 0, v15
	s_nop 1
	v_cndmask_b32_e64 v11, v13, v11, s[2:3]
	v_cndmask_b32_e64 v13, 0, -1, vcc
	v_cmp_le_u32_e32 vcc, s24, v14
	s_nop 1
	v_cndmask_b32_e64 v14, 0, -1, vcc
	v_cmp_eq_u32_e32 vcc, s25, v5
	s_nop 1
	v_cndmask_b32_e32 v5, v13, v14, vcc
	v_cmp_ne_u32_e32 vcc, 0, v5
	v_cndmask_b32_e64 v5, v12, v10, s[2:3]
	s_nop 0
	v_cndmask_b32_e32 v33, v9, v11, vcc
	v_cndmask_b32_e32 v32, v8, v5, vcc
.LBB0_4:                                ;   in Loop: Header=BB0_2 Depth=1
	s_andn2_saveexec_b64 s[2:3], s[26:27]
	s_cbranch_execz .LBB0_6
; %bb.5:                                ;   in Loop: Header=BB0_2 Depth=1
	v_cvt_f32_u32_e32 v5, s24
	s_sub_i32 s26, 0, s24
	v_mov_b32_e32 v33, v4
	v_rcp_iflag_f32_e32 v5, v5
	s_nop 0
	v_mul_f32_e32 v5, 0x4f7ffffe, v5
	v_cvt_u32_f32_e32 v5, v5
	v_mul_lo_u32 v8, s26, v5
	v_mul_hi_u32 v8, v5, v8
	v_add_u32_e32 v5, v5, v8
	v_mul_hi_u32 v5, v6, v5
	v_mul_lo_u32 v8, v5, s24
	v_sub_u32_e32 v8, v6, v8
	v_add_u32_e32 v9, 1, v5
	v_subrev_u32_e32 v10, s24, v8
	v_cmp_le_u32_e32 vcc, s24, v8
	s_nop 1
	v_cndmask_b32_e32 v8, v8, v10, vcc
	v_cndmask_b32_e32 v5, v5, v9, vcc
	v_add_u32_e32 v9, 1, v5
	v_cmp_le_u32_e32 vcc, s24, v8
	s_nop 1
	v_cndmask_b32_e32 v32, v5, v9, vcc
.LBB0_6:                                ;   in Loop: Header=BB0_2 Depth=1
	s_or_b64 exec, exec, s[2:3]
	v_mad_u64_u32 v[8:9], s[2:3], v32, s24, 0
	s_load_dwordx2 s[2:3], s[18:19], 0x0
	v_mul_lo_u32 v5, v33, s24
	v_mul_lo_u32 v10, v32, s25
	s_load_dwordx2 s[24:25], s[16:17], 0x0
	s_add_u32 s22, s22, 1
	v_add3_u32 v5, v9, v10, v5
	v_sub_co_u32_e32 v6, vcc, v6, v8
	s_addc_u32 s23, s23, 0
	s_nop 0
	v_subb_co_u32_e32 v5, vcc, v7, v5, vcc
	s_add_u32 s16, s16, 8
	s_waitcnt lgkmcnt(0)
	v_mul_lo_u32 v7, s2, v5
	v_mul_lo_u32 v8, s3, v6
	v_mad_u64_u32 v[2:3], s[2:3], s2, v6, v[2:3]
	s_addc_u32 s17, s17, 0
	v_add3_u32 v3, v8, v3, v7
	v_mul_lo_u32 v5, s24, v5
	v_mul_lo_u32 v7, s25, v6
	v_mad_u64_u32 v[28:29], s[2:3], s24, v6, v[28:29]
	s_add_u32 s18, s18, 8
	v_add3_u32 v29, v7, v29, v5
	s_addc_u32 s19, s19, 0
	v_mov_b64_e32 v[6:7], s[10:11]
	s_add_u32 s20, s20, 8
	v_cmp_ge_u64_e32 vcc, s[22:23], v[6:7]
	s_addc_u32 s21, s21, 0
	s_cbranch_vccnz .LBB0_9
; %bb.7:                                ;   in Loop: Header=BB0_2 Depth=1
	v_mov_b64_e32 v[6:7], v[32:33]
	s_branch .LBB0_2
.LBB0_8:
	v_mov_b64_e32 v[28:29], v[2:3]
	v_mov_b64_e32 v[32:33], v[6:7]
.LBB0_9:
	s_load_dwordx2 s[2:3], s[0:1], 0x28
	s_lshl_b64 s[16:17], s[10:11], 3
	s_add_u32 s10, s14, s16
	v_and_b32_e32 v1, 1, v1
	s_addc_u32 s11, s15, s17
	v_cmp_eq_u32_e32 vcc, 1, v1
	v_mov_b32_e32 v1, 0x7e1
	s_waitcnt lgkmcnt(0)
	v_cmp_gt_u64_e64 s[0:1], s[2:3], v[32:33]
	v_cmp_le_u64_e64 s[2:3], s[2:3], v[32:33]
                                        ; implicit-def: $vgpr42_vgpr43
                                        ; implicit-def: $vgpr44_vgpr45
                                        ; implicit-def: $vgpr30
                                        ; implicit-def: $vgpr34
                                        ; implicit-def: $vgpr40
                                        ; implicit-def: $vgpr38
                                        ; implicit-def: $vgpr36
                                        ; implicit-def: $vgpr48
                                        ; implicit-def: $vgpr46
	s_and_saveexec_b64 s[14:15], s[2:3]
	s_xor_b64 s[2:3], exec, s[14:15]
	s_cbranch_execz .LBB0_11
; %bb.10:
	s_mov_b32 s14, 0x2492493
	v_mul_hi_u32 v2, v0, s14
	v_mul_u32_u24_e32 v2, 0x70, v2
	v_sub_u32_e32 v30, v0, v2
	v_add_u32_e32 v45, 0x150, v30
	v_add_u32_e32 v43, 0x230, v30
	;; [unrolled: 1-line block ×7, first 2 shown]
	v_or_b32_e32 v36, 0x380, v30
	v_mov_b32_e32 v48, v45
	v_mov_b32_e32 v46, v43
                                        ; implicit-def: $vgpr0
                                        ; implicit-def: $vgpr2_vgpr3
.LBB0_11:
	s_or_saveexec_b64 s[2:3], s[2:3]
	v_cndmask_b32_e32 v1, 0, v1, vcc
	s_xor_b64 exec, exec, s[2:3]
	s_cbranch_execz .LBB0_13
; %bb.12:
	s_add_u32 s12, s12, s16
	s_addc_u32 s13, s13, s17
	s_load_dwordx2 s[12:13], s[12:13], 0x0
	s_mov_b32 s14, 0x2492493
	s_waitcnt lgkmcnt(0)
	v_mul_lo_u32 v6, s13, v32
	v_mul_lo_u32 v7, s12, v33
	v_mad_u64_u32 v[4:5], s[12:13], s12, v32, 0
	v_add3_u32 v5, v5, v7, v6
	v_mul_hi_u32 v6, v0, s14
	v_mul_u32_u24_e32 v6, 0x70, v6
	v_sub_u32_e32 v30, v0, v6
	v_lshl_add_u64 v[4:5], v[4:5], 3, s[4:5]
	v_lshl_add_u64 v[2:3], v[2:3], 3, v[4:5]
	v_mov_b32_e32 v5, 0
	v_add_u32_e32 v45, 0x150, v30
	v_add_u32_e32 v44, 0xe0, v30
	v_lshlrev_b32_e32 v4, 3, v30
	v_mov_b32_e32 v8, v44
	v_mov_b32_e32 v9, v5
	v_mov_b32_e32 v10, v45
	v_mov_b32_e32 v11, v5
	v_lshl_add_u64 v[6:7], v[2:3], 0, v[4:5]
	v_lshl_add_u64 v[8:9], v[8:9], 3, v[2:3]
	;; [unrolled: 1-line block ×3, first 2 shown]
	v_add_u32_e32 v43, 0x230, v30
	v_add_u32_e32 v42, 0x1c0, v30
	s_movk_i32 s4, 0x1000
	global_load_dwordx2 v[12:13], v[6:7], off
	global_load_dwordx2 v[14:15], v[6:7], off offset:896
	global_load_dwordx2 v[16:17], v[8:9], off
	global_load_dwordx2 v[18:19], v[10:11], off
	v_mov_b32_e32 v8, v42
	v_mov_b32_e32 v9, v5
	;; [unrolled: 1-line block ×4, first 2 shown]
	v_add_co_u32_e32 v20, vcc, s4, v6
	v_lshl_add_u64 v[8:9], v[8:9], 3, v[2:3]
	v_lshl_add_u64 v[10:11], v[10:11], 3, v[2:3]
	v_addc_co_u32_e32 v21, vcc, 0, v7, vcc
	s_movk_i32 s4, 0x2000
	global_load_dwordx2 v[22:23], v[8:9], off
	global_load_dwordx2 v[24:25], v[10:11], off
	global_load_dwordx2 v[26:27], v[20:21], off offset:1280
	global_load_dwordx2 v[46:47], v[20:21], off offset:2176
	v_or_b32_e32 v36, 0x380, v30
	v_add_co_u32_e32 v10, vcc, s4, v6
	v_lshl_add_u32 v0, v1, 3, 0
	v_lshlrev_b32_e32 v8, 3, v36
	v_mov_b32_e32 v9, v5
	v_addc_co_u32_e32 v11, vcc, 0, v7, vcc
	v_add_u32_e32 v31, v0, v4
	v_lshl_add_u64 v[8:9], v[2:3], 0, v[8:9]
	global_load_dwordx2 v[48:49], v[10:11], off offset:1664
	global_load_dwordx2 v[50:51], v[10:11], off offset:768
	global_load_dwordx2 v[52:53], v[8:9], off
	global_load_dwordx2 v[54:55], v[20:21], off offset:3968
	v_add_co_u32_e32 v6, vcc, 0x3000, v6
	v_or_b32_e32 v4, 0x3800, v4
	s_nop 0
	v_addc_co_u32_e32 v7, vcc, 0, v7, vcc
	global_load_dwordx2 v[8:9], v[10:11], off offset:2560
	global_load_dwordx2 v[20:21], v[10:11], off offset:3456
	;; [unrolled: 1-line block ×4, first 2 shown]
	v_lshl_add_u64 v[2:3], v[2:3], 0, v[4:5]
	global_load_dwordx2 v[4:5], v[2:3], off
	global_load_dwordx2 v[10:11], v[6:7], off offset:2944
	v_lshl_add_u32 v2, v44, 3, v0
	v_lshl_add_u32 v3, v45, 3, v0
	;; [unrolled: 1-line block ×4, first 2 shown]
	v_add_u32_e32 v7, 0x1400, v31
	v_add_u32_e32 v35, 0x1800, v31
	;; [unrolled: 1-line block ×7, first 2 shown]
	s_waitcnt vmcnt(16)
	ds_write2_b64 v31, v[12:13], v[14:15] offset1:112
	s_waitcnt vmcnt(15)
	ds_write_b64 v2, v[16:17]
	s_waitcnt vmcnt(14)
	ds_write_b64 v3, v[18:19]
	;; [unrolled: 2-line block ×4, first 2 shown]
	s_waitcnt vmcnt(10)
	ds_write2_b64 v7, v[26:27], v[46:47] offset0:32 offset1:144
	s_waitcnt vmcnt(6)
	ds_write2_b64 v35, v[52:53], v[54:55] offset0:128 offset1:240
	ds_write2_b64 v37, v[50:51], v[48:49] offset0:96 offset1:208
	s_waitcnt vmcnt(4)
	ds_write2_b64 v39, v[8:9], v[20:21] offset0:64 offset1:176
	v_add_u32_e32 v0, 0x3000, v31
	s_waitcnt vmcnt(2)
	ds_write2_b64 v0, v[56:57], v[58:59] offset0:32 offset1:144
	v_add_u32_e32 v0, 0x3800, v31
	v_mov_b32_e32 v46, v43
	v_mov_b32_e32 v48, v45
	s_waitcnt vmcnt(0)
	ds_write2_b64 v0, v[4:5], v[10:11] offset1:112
.LBB0_13:
	s_or_b64 exec, exec, s[2:3]
	v_lshlrev_b32_e32 v0, 3, v1
	v_lshlrev_b32_e32 v31, 3, v30
	v_add3_u32 v35, 0, v31, v0
	v_add_u32_e32 v78, 0, v0
	v_add_u32_e32 v1, 0x1800, v35
	;; [unrolled: 1-line block ×5, first 2 shown]
	s_load_dwordx2 s[4:5], s[10:11], 0x0
	s_waitcnt lgkmcnt(0)
	s_barrier
	v_add_u32_e32 v37, v78, v31
	ds_read2_b64 v[8:11], v1 offset0:16 offset1:128
	ds_read2_b64 v[12:15], v4 offset0:16 offset1:128
	;; [unrolled: 1-line block ×3, first 2 shown]
	v_add_u32_e32 v5, 0x2c00, v35
	ds_read2_b64 v[20:23], v7 offset0:112 offset1:224
	ds_read_b64 v[62:63], v35 offset:15232
	ds_read_b64 v[54:55], v37
	ds_read2_b64 v[24:27], v5 offset0:48 offset1:160
	v_add_u32_e32 v3, 0x800, v35
	v_add_u32_e32 v6, 0x2400, v35
	ds_read2_b64 v[50:53], v3 offset0:80 offset1:192
	s_waitcnt lgkmcnt(2)
	v_pk_add_f32 v[20:21], v[54:55], v[20:21] neg_lo:[0,1] neg_hi:[0,1]
	v_add_u32_e32 v39, v35, v31
	v_pk_fma_f32 v[64:65], v[54:55], 2.0, v[20:21] op_sel_hi:[1,0,1] neg_lo:[0,0,1] neg_hi:[0,0,1]
	ds_read2_b64 v[54:57], v6 offset0:80 offset1:192
	ds_read2_b64 v[58:61], v35 offset0:112 offset1:224
	s_waitcnt lgkmcnt(0)
	s_barrier
	ds_write2_b64 v39, v[64:65], v[20:21] offset1:1
	v_pk_add_f32 v[20:21], v[58:59], v[22:23] neg_lo:[0,1] neg_hi:[0,1]
	v_lshl_add_u32 v39, v34, 4, v78
	v_pk_fma_f32 v[22:23], v[58:59], 2.0, v[20:21] op_sel_hi:[1,0,1] neg_lo:[0,0,1] neg_hi:[0,0,1]
	ds_write2_b64 v39, v[22:23], v[20:21] offset1:1
	v_pk_add_f32 v[20:21], v[60:61], v[54:55] neg_lo:[0,1] neg_hi:[0,1]
	v_lshl_add_u32 v39, v44, 4, v78
	v_pk_fma_f32 v[22:23], v[60:61], 2.0, v[20:21] op_sel_hi:[1,0,1] neg_lo:[0,0,1] neg_hi:[0,0,1]
	;; [unrolled: 4-line block ×3, first 2 shown]
	v_pk_add_f32 v[24:25], v[52:53], v[24:25] neg_lo:[0,1] neg_hi:[0,1]
	v_pk_add_f32 v[20:21], v[10:11], v[62:63] neg_lo:[0,1] neg_hi:[0,1]
	v_pk_add_f32 v[14:15], v[8:9], v[14:15] neg_lo:[0,1] neg_hi:[0,1]
	v_pk_add_f32 v[12:13], v[18:19], v[12:13] neg_lo:[0,1] neg_hi:[0,1]
	v_lshl_add_u32 v47, v42, 4, v78
	ds_write2_b64 v41, v[50:51], v[22:23] offset1:1
	v_pk_add_f32 v[22:23], v[16:17], v[26:27] neg_lo:[0,1] neg_hi:[0,1]
	v_pk_fma_f32 v[26:27], v[52:53], 2.0, v[24:25] op_sel_hi:[1,0,1] neg_lo:[0,0,1] neg_hi:[0,0,1]
	v_pk_fma_f32 v[10:11], v[10:11], 2.0, v[20:21] op_sel_hi:[1,0,1] neg_lo:[0,0,1] neg_hi:[0,0,1]
	;; [unrolled: 1-line block ×3, first 2 shown]
	v_lshl_add_u32 v49, v46, 4, v78
	v_pk_fma_f32 v[18:19], v[18:19], 2.0, v[12:13] op_sel_hi:[1,0,1] neg_lo:[0,0,1] neg_hi:[0,0,1]
	v_pk_fma_f32 v[16:17], v[16:17], 2.0, v[22:23] op_sel_hi:[1,0,1] neg_lo:[0,0,1] neg_hi:[0,0,1]
	v_lshl_add_u32 v50, v40, 4, v78
	v_lshl_add_u32 v51, v38, 4, v78
	;; [unrolled: 1-line block ×3, first 2 shown]
	ds_write2_b64 v47, v[26:27], v[24:25] offset1:1
	ds_write2_b64 v49, v[16:17], v[22:23] offset1:1
	;; [unrolled: 1-line block ×5, first 2 shown]
	v_and_b32_e32 v25, 1, v30
	v_lshlrev_b32_e32 v8, 3, v25
	s_waitcnt lgkmcnt(0)
	s_barrier
	global_load_dwordx2 v[26:27], v8, s[8:9]
	ds_read2_b64 v[16:19], v7 offset0:112 offset1:224
	v_lshlrev_b32_e32 v8, 3, v44
	v_sub_u32_e32 v24, v39, v8
	v_lshlrev_b32_e32 v8, 3, v48
	v_sub_u32_e32 v10, v41, v8
	v_lshl_add_u32 v79, v34, 3, v78
	ds_read_b64 v[58:59], v10
	ds_read_b64 v[60:61], v79
	ds_read_b64 v[62:63], v35 offset:15232
	ds_read_b64 v[20:21], v37
	v_lshlrev_b32_e32 v11, 3, v40
	v_lshlrev_b32_e32 v12, 3, v38
	v_sub_u32_e32 v11, v50, v11
	v_sub_u32_e32 v12, v51, v12
	v_lshlrev_b32_e32 v14, 1, v30
	s_movk_i32 s2, 0xfc
	v_lshlrev_b32_e32 v13, 3, v36
	v_and_or_b32 v15, v14, s2, v25
	v_lshlrev_b32_e32 v8, 3, v42
	v_lshlrev_b32_e32 v9, 3, v46
	v_sub_u32_e32 v13, v54, v13
	v_lshl_add_u32 v15, v15, 3, v78
	v_sub_u32_e32 v8, v47, v8
	v_sub_u32_e32 v9, v49, v9
	ds_read_b64 v[64:65], v13
	s_movk_i32 s2, 0x1fc
	s_movk_i32 s3, 0x5fc
	s_mov_b32 s10, 0xaaab
	s_movk_i32 s11, 0xab
	s_waitcnt vmcnt(0) lgkmcnt(5)
	v_pk_mul_f32 v[22:23], v[26:27], v[16:17] op_sel:[0,1]
	s_nop 0
	v_pk_fma_f32 v[50:51], v[26:27], v[16:17], v[22:23] op_sel:[0,0,1] op_sel_hi:[1,1,0] neg_lo:[0,0,1] neg_hi:[0,0,1]
	v_pk_fma_f32 v[16:17], v[26:27], v[16:17], v[22:23] op_sel:[0,0,1] op_sel_hi:[1,0,0]
	s_nop 0
	v_mov_b32_e32 v51, v17
	s_waitcnt lgkmcnt(1)
	v_pk_add_f32 v[16:17], v[20:21], v[50:51] neg_lo:[0,1] neg_hi:[0,1]
	s_nop 0
	v_pk_fma_f32 v[66:67], v[20:21], 2.0, v[16:17] op_sel_hi:[1,0,1] neg_lo:[0,0,1] neg_hi:[0,0,1]
	ds_read_b64 v[68:69], v12
	ds_read_b64 v[70:71], v11
	;; [unrolled: 1-line block ×5, first 2 shown]
	ds_read2_b64 v[20:23], v6 offset0:80 offset1:192
	ds_read2_b64 v[50:53], v5 offset0:48 offset1:160
	;; [unrolled: 1-line block ×3, first 2 shown]
	s_waitcnt lgkmcnt(0)
	s_barrier
	ds_write2_b64 v15, v[66:67], v[16:17] offset1:2
	v_pk_mul_f32 v[16:17], v[26:27], v[18:19] op_sel:[0,1]
	s_nop 0
	v_pk_fma_f32 v[66:67], v[26:27], v[18:19], v[16:17] op_sel:[0,0,1] op_sel_hi:[1,1,0] neg_lo:[0,0,1] neg_hi:[0,0,1]
	v_pk_fma_f32 v[16:17], v[26:27], v[18:19], v[16:17] op_sel:[0,0,1] op_sel_hi:[1,0,0]
	s_nop 0
	v_mov_b32_e32 v67, v17
	v_lshlrev_b32_e32 v16, 1, v34
	v_and_or_b32 v15, v16, s2, v25
	v_pk_add_f32 v[18:19], v[60:61], v[66:67] neg_lo:[0,1] neg_hi:[0,1]
	v_lshl_add_u32 v15, v15, 3, v78
	v_pk_fma_f32 v[60:61], v[60:61], 2.0, v[18:19] op_sel_hi:[1,0,1] neg_lo:[0,0,1] neg_hi:[0,0,1]
	ds_write2_b64 v15, v[60:61], v[18:19] offset1:2
	v_pk_mul_f32 v[18:19], v[26:27], v[20:21] op_sel:[0,1]
	s_movk_i32 s2, 0x3fc
	v_pk_fma_f32 v[60:61], v[26:27], v[20:21], v[18:19] op_sel:[0,0,1] op_sel_hi:[1,1,0] neg_lo:[0,0,1] neg_hi:[0,0,1]
	v_pk_fma_f32 v[18:19], v[26:27], v[20:21], v[18:19] op_sel:[0,0,1] op_sel_hi:[1,0,0]
	v_lshlrev_b32_e32 v17, 1, v44
	v_mov_b32_e32 v61, v19
	v_and_or_b32 v15, v17, s2, v25
	v_pk_add_f32 v[18:19], v[76:77], v[60:61] neg_lo:[0,1] neg_hi:[0,1]
	v_lshl_add_u32 v15, v15, 3, v78
	v_pk_fma_f32 v[20:21], v[76:77], 2.0, v[18:19] op_sel_hi:[1,0,1] neg_lo:[0,0,1] neg_hi:[0,0,1]
	ds_write2_b64 v15, v[20:21], v[18:19] offset1:2
	v_pk_mul_f32 v[18:19], v[26:27], v[22:23] op_sel:[0,1]
	s_nop 0
	v_pk_fma_f32 v[20:21], v[26:27], v[22:23], v[18:19] op_sel:[0,0,1] op_sel_hi:[1,1,0] neg_lo:[0,0,1] neg_hi:[0,0,1]
	v_pk_fma_f32 v[18:19], v[26:27], v[22:23], v[18:19] op_sel:[0,0,1] op_sel_hi:[1,0,0]
	s_nop 0
	v_mov_b32_e32 v21, v19
	v_lshlrev_b32_e32 v18, 1, v48
	v_and_or_b32 v15, v18, s2, v25
	v_pk_add_f32 v[20:21], v[58:59], v[20:21] neg_lo:[0,1] neg_hi:[0,1]
	v_lshl_add_u32 v15, v15, 3, v78
	v_pk_fma_f32 v[22:23], v[58:59], 2.0, v[20:21] op_sel_hi:[1,0,1] neg_lo:[0,0,1] neg_hi:[0,0,1]
	ds_write2_b64 v15, v[22:23], v[20:21] offset1:2
	v_pk_mul_f32 v[20:21], v[26:27], v[50:51] op_sel:[0,1]
	s_movk_i32 s2, 0x7fc
	v_pk_fma_f32 v[22:23], v[26:27], v[50:51], v[20:21] op_sel:[0,0,1] op_sel_hi:[1,1,0] neg_lo:[0,0,1] neg_hi:[0,0,1]
	v_pk_fma_f32 v[20:21], v[26:27], v[50:51], v[20:21] op_sel:[0,0,1] op_sel_hi:[1,0,0]
	s_nop 0
	v_mov_b32_e32 v23, v21
	v_lshlrev_b32_e32 v20, 1, v42
	v_and_or_b32 v15, v20, s2, v25
	v_pk_add_f32 v[22:23], v[74:75], v[22:23] neg_lo:[0,1] neg_hi:[0,1]
	v_lshl_add_u32 v15, v15, 3, v78
	v_pk_fma_f32 v[50:51], v[74:75], 2.0, v[22:23] op_sel_hi:[1,0,1] neg_lo:[0,0,1] neg_hi:[0,0,1]
	ds_write2_b64 v15, v[50:51], v[22:23] offset1:2
	v_pk_mul_f32 v[22:23], v[26:27], v[52:53] op_sel:[0,1]
	v_lshlrev_b32_e32 v15, 1, v46
	v_pk_fma_f32 v[50:51], v[26:27], v[52:53], v[22:23] op_sel:[0,0,1] op_sel_hi:[1,1,0] neg_lo:[0,0,1] neg_hi:[0,0,1]
	v_pk_fma_f32 v[22:23], v[26:27], v[52:53], v[22:23] op_sel:[0,0,1] op_sel_hi:[1,0,0]
	v_and_or_b32 v19, v15, s3, v25
	v_mov_b32_e32 v51, v23
	v_pk_add_f32 v[22:23], v[72:73], v[50:51] neg_lo:[0,1] neg_hi:[0,1]
	v_lshl_add_u32 v19, v19, 3, v78
	v_pk_fma_f32 v[50:51], v[72:73], 2.0, v[22:23] op_sel_hi:[1,0,1] neg_lo:[0,0,1] neg_hi:[0,0,1]
	ds_write2_b64 v19, v[50:51], v[22:23] offset1:2
	v_pk_mul_f32 v[22:23], v[54:55], v[26:27] op_sel:[0,1]
	v_lshlrev_b32_e32 v19, 1, v40
	v_pk_fma_f32 v[50:51], v[54:55], v[26:27], v[22:23] op_sel:[0,0,1] op_sel_hi:[1,1,0] neg_lo:[0,0,1] neg_hi:[0,0,1]
	v_pk_fma_f32 v[22:23], v[54:55], v[26:27], v[22:23] op_sel:[0,0,1] op_sel_hi:[1,0,0]
	v_and_or_b32 v21, v19, s2, v25
	v_mov_b32_e32 v51, v23
	v_pk_add_f32 v[22:23], v[70:71], v[50:51] neg_lo:[0,1] neg_hi:[0,1]
	v_lshl_add_u32 v21, v21, 3, v78
	v_pk_fma_f32 v[50:51], v[70:71], 2.0, v[22:23] op_sel_hi:[1,0,1] neg_lo:[0,0,1] neg_hi:[0,0,1]
	ds_write2_b64 v21, v[50:51], v[22:23] offset1:2
	v_pk_mul_f32 v[22:23], v[56:57], v[26:27] op_sel:[0,1]
	v_pk_mul_f32 v[52:53], v[62:63], v[26:27] op_sel:[0,1]
	v_pk_fma_f32 v[50:51], v[56:57], v[26:27], v[22:23] op_sel:[0,0,1] op_sel_hi:[1,1,0] neg_lo:[0,0,1] neg_hi:[0,0,1]
	v_pk_fma_f32 v[22:23], v[56:57], v[26:27], v[22:23] op_sel:[0,0,1] op_sel_hi:[1,0,0]
	v_pk_fma_f32 v[54:55], v[62:63], v[26:27], v[52:53] op_sel:[0,0,1] op_sel_hi:[1,1,0] neg_lo:[0,0,1] neg_hi:[0,0,1]
	v_pk_fma_f32 v[26:27], v[62:63], v[26:27], v[52:53] op_sel:[0,0,1] op_sel_hi:[1,0,0]
	v_lshlrev_b32_e32 v21, 1, v38
	v_lshlrev_b32_e32 v22, 1, v36
	v_mov_b32_e32 v51, v23
	v_mov_b32_e32 v55, v27
	v_and_or_b32 v26, v21, s2, v25
	v_and_or_b32 v25, v22, s2, v25
	v_pk_add_f32 v[50:51], v[68:69], v[50:51] neg_lo:[0,1] neg_hi:[0,1]
	v_lshl_add_u32 v39, v26, 3, v78
	v_lshl_add_u32 v25, v25, 3, v78
	v_pk_add_f32 v[26:27], v[64:65], v[54:55] neg_lo:[0,1] neg_hi:[0,1]
	v_pk_fma_f32 v[54:55], v[68:69], 2.0, v[50:51] op_sel_hi:[1,0,1] neg_lo:[0,0,1] neg_hi:[0,0,1]
	v_and_b32_e32 v23, 3, v30
	v_pk_fma_f32 v[52:53], v[64:65], 2.0, v[26:27] op_sel_hi:[1,0,1] neg_lo:[0,0,1] neg_hi:[0,0,1]
	ds_write2_b64 v39, v[54:55], v[50:51] offset1:2
	ds_write2_b64 v25, v[52:53], v[26:27] offset1:2
	v_lshlrev_b32_e32 v25, 3, v23
	s_waitcnt lgkmcnt(0)
	s_barrier
	global_load_dwordx2 v[26:27], v25, s[8:9] offset:16
	ds_read2_b64 v[50:53], v7 offset0:112 offset1:224
	s_movk_i32 s2, 0xf8
	v_and_or_b32 v25, v14, s2, v23
	v_lshl_add_u32 v25, v25, 3, v78
	s_movk_i32 s2, 0x1f8
	s_movk_i32 s3, 0x5f8
	s_waitcnt vmcnt(0) lgkmcnt(0)
	v_pk_mul_f32 v[54:55], v[26:27], v[50:51] op_sel:[0,1]
	s_nop 0
	v_pk_fma_f32 v[56:57], v[26:27], v[50:51], v[54:55] op_sel:[0,0,1] op_sel_hi:[1,1,0] neg_lo:[0,0,1] neg_hi:[0,0,1]
	v_pk_fma_f32 v[50:51], v[26:27], v[50:51], v[54:55] op_sel:[0,0,1] op_sel_hi:[1,0,0]
	ds_read_b64 v[54:55], v37
	v_mov_b32_e32 v57, v51
	ds_read_b64 v[50:51], v10
	ds_read_b64 v[66:67], v79
	ds_read_b64 v[68:69], v35 offset:15232
	s_waitcnt lgkmcnt(3)
	v_pk_add_f32 v[70:71], v[54:55], v[56:57] neg_lo:[0,1] neg_hi:[0,1]
	s_nop 0
	v_pk_fma_f32 v[72:73], v[54:55], 2.0, v[70:71] op_sel_hi:[1,0,1] neg_lo:[0,0,1] neg_hi:[0,0,1]
	ds_read_b64 v[74:75], v13
	ds_read_b64 v[76:77], v12
	;; [unrolled: 1-line block ×6, first 2 shown]
	ds_read2_b64 v[54:57], v6 offset0:80 offset1:192
	ds_read2_b64 v[58:61], v5 offset0:48 offset1:160
	;; [unrolled: 1-line block ×3, first 2 shown]
	s_waitcnt lgkmcnt(0)
	s_barrier
	ds_write2_b64 v25, v[72:73], v[70:71] offset1:4
	v_pk_mul_f32 v[70:71], v[26:27], v[52:53] op_sel:[0,1]
	v_and_or_b32 v25, v16, s2, v23
	v_pk_fma_f32 v[72:73], v[26:27], v[52:53], v[70:71] op_sel:[0,0,1] op_sel_hi:[1,1,0] neg_lo:[0,0,1] neg_hi:[0,0,1]
	v_pk_fma_f32 v[52:53], v[26:27], v[52:53], v[70:71] op_sel:[0,0,1] op_sel_hi:[1,0,0]
	v_lshl_add_u32 v25, v25, 3, v78
	v_mov_b32_e32 v73, v53
	v_pk_add_f32 v[52:53], v[66:67], v[72:73] neg_lo:[0,1] neg_hi:[0,1]
	s_movk_i32 s2, 0x3f8
	v_pk_fma_f32 v[66:67], v[66:67], 2.0, v[52:53] op_sel_hi:[1,0,1] neg_lo:[0,0,1] neg_hi:[0,0,1]
	ds_write2_b64 v25, v[66:67], v[52:53] offset1:4
	v_pk_mul_f32 v[52:53], v[26:27], v[54:55] op_sel:[0,1]
	v_and_or_b32 v25, v17, s2, v23
	v_pk_fma_f32 v[66:67], v[26:27], v[54:55], v[52:53] op_sel:[0,0,1] op_sel_hi:[1,1,0] neg_lo:[0,0,1] neg_hi:[0,0,1]
	v_pk_fma_f32 v[52:53], v[26:27], v[54:55], v[52:53] op_sel:[0,0,1] op_sel_hi:[1,0,0]
	v_lshl_add_u32 v25, v25, 3, v78
	v_mov_b32_e32 v67, v53
	v_pk_add_f32 v[52:53], v[86:87], v[66:67] neg_lo:[0,1] neg_hi:[0,1]
	s_nop 0
	v_pk_fma_f32 v[54:55], v[86:87], 2.0, v[52:53] op_sel_hi:[1,0,1] neg_lo:[0,0,1] neg_hi:[0,0,1]
	ds_write2_b64 v25, v[54:55], v[52:53] offset1:4
	v_pk_mul_f32 v[52:53], v[26:27], v[56:57] op_sel:[0,1]
	v_and_or_b32 v25, v18, s2, v23
	v_pk_fma_f32 v[54:55], v[26:27], v[56:57], v[52:53] op_sel:[0,0,1] op_sel_hi:[1,1,0] neg_lo:[0,0,1] neg_hi:[0,0,1]
	v_pk_fma_f32 v[52:53], v[26:27], v[56:57], v[52:53] op_sel:[0,0,1] op_sel_hi:[1,0,0]
	v_lshl_add_u32 v25, v25, 3, v78
	v_mov_b32_e32 v55, v53
	v_pk_add_f32 v[52:53], v[50:51], v[54:55] neg_lo:[0,1] neg_hi:[0,1]
	s_movk_i32 s2, 0x7f8
	v_pk_fma_f32 v[50:51], v[50:51], 2.0, v[52:53] op_sel_hi:[1,0,1] neg_lo:[0,0,1] neg_hi:[0,0,1]
	ds_write2_b64 v25, v[50:51], v[52:53] offset1:4
	v_pk_mul_f32 v[50:51], v[26:27], v[58:59] op_sel:[0,1]
	v_and_or_b32 v25, v20, s2, v23
	v_pk_fma_f32 v[52:53], v[26:27], v[58:59], v[50:51] op_sel:[0,0,1] op_sel_hi:[1,1,0] neg_lo:[0,0,1] neg_hi:[0,0,1]
	v_pk_fma_f32 v[50:51], v[26:27], v[58:59], v[50:51] op_sel:[0,0,1] op_sel_hi:[1,0,0]
	v_lshl_add_u32 v25, v25, 3, v78
	v_mov_b32_e32 v53, v51
	v_pk_add_f32 v[50:51], v[84:85], v[52:53] neg_lo:[0,1] neg_hi:[0,1]
	v_pk_mul_f32 v[54:55], v[68:69], v[26:27] op_sel:[0,1]
	v_pk_fma_f32 v[52:53], v[84:85], 2.0, v[50:51] op_sel_hi:[1,0,1] neg_lo:[0,0,1] neg_hi:[0,0,1]
	ds_write2_b64 v25, v[52:53], v[50:51] offset1:4
	v_pk_mul_f32 v[50:51], v[26:27], v[60:61] op_sel:[0,1]
	v_and_or_b32 v25, v15, s3, v23
	v_pk_fma_f32 v[52:53], v[26:27], v[60:61], v[50:51] op_sel:[0,0,1] op_sel_hi:[1,1,0] neg_lo:[0,0,1] neg_hi:[0,0,1]
	v_pk_fma_f32 v[50:51], v[26:27], v[60:61], v[50:51] op_sel:[0,0,1] op_sel_hi:[1,0,0]
	v_lshl_add_u32 v25, v25, 3, v78
	v_mov_b32_e32 v53, v51
	v_pk_add_f32 v[50:51], v[82:83], v[52:53] neg_lo:[0,1] neg_hi:[0,1]
	v_pk_fma_f32 v[56:57], v[68:69], v[26:27], v[54:55] op_sel:[0,0,1] op_sel_hi:[1,1,0] neg_lo:[0,0,1] neg_hi:[0,0,1]
	v_pk_fma_f32 v[52:53], v[82:83], 2.0, v[50:51] op_sel_hi:[1,0,1] neg_lo:[0,0,1] neg_hi:[0,0,1]
	ds_write2_b64 v25, v[52:53], v[50:51] offset1:4
	v_pk_mul_f32 v[50:51], v[26:27], v[62:63] op_sel:[0,1]
	v_and_or_b32 v25, v19, s2, v23
	v_pk_fma_f32 v[52:53], v[26:27], v[62:63], v[50:51] op_sel:[0,0,1] op_sel_hi:[1,1,0] neg_lo:[0,0,1] neg_hi:[0,0,1]
	v_pk_fma_f32 v[50:51], v[26:27], v[62:63], v[50:51] op_sel:[0,0,1] op_sel_hi:[1,0,0]
	v_lshl_add_u32 v25, v25, 3, v78
	v_mov_b32_e32 v53, v51
	v_pk_add_f32 v[50:51], v[80:81], v[52:53] neg_lo:[0,1] neg_hi:[0,1]
	s_movk_i32 s3, 0x5f0
	v_pk_fma_f32 v[52:53], v[80:81], 2.0, v[50:51] op_sel_hi:[1,0,1] neg_lo:[0,0,1] neg_hi:[0,0,1]
	ds_write2_b64 v25, v[52:53], v[50:51] offset1:4
	v_pk_mul_f32 v[50:51], v[64:65], v[26:27] op_sel:[0,1]
	v_and_or_b32 v25, v21, s2, v23
	v_pk_fma_f32 v[52:53], v[64:65], v[26:27], v[50:51] op_sel:[0,0,1] op_sel_hi:[1,1,0] neg_lo:[0,0,1] neg_hi:[0,0,1]
	v_pk_fma_f32 v[50:51], v[64:65], v[26:27], v[50:51] op_sel:[0,0,1] op_sel_hi:[1,0,0]
	v_pk_fma_f32 v[26:27], v[68:69], v[26:27], v[54:55] op_sel:[0,0,1] op_sel_hi:[1,0,0]
	v_mov_b32_e32 v53, v51
	v_mov_b32_e32 v57, v27
	v_and_or_b32 v23, v22, s2, v23
	v_pk_add_f32 v[50:51], v[76:77], v[52:53] neg_lo:[0,1] neg_hi:[0,1]
	v_lshl_add_u32 v25, v25, 3, v78
	v_lshl_add_u32 v23, v23, 3, v78
	v_pk_add_f32 v[26:27], v[74:75], v[56:57] neg_lo:[0,1] neg_hi:[0,1]
	v_pk_fma_f32 v[52:53], v[76:77], 2.0, v[50:51] op_sel_hi:[1,0,1] neg_lo:[0,0,1] neg_hi:[0,0,1]
	v_pk_fma_f32 v[54:55], v[74:75], 2.0, v[26:27] op_sel_hi:[1,0,1] neg_lo:[0,0,1] neg_hi:[0,0,1]
	ds_write2_b64 v25, v[52:53], v[50:51] offset1:4
	ds_write2_b64 v23, v[54:55], v[26:27] offset1:4
	v_and_b32_e32 v23, 7, v30
	v_lshlrev_b32_e32 v25, 3, v23
	s_waitcnt lgkmcnt(0)
	s_barrier
	global_load_dwordx2 v[26:27], v25, s[8:9] offset:48
	ds_read2_b64 v[50:53], v7 offset0:112 offset1:224
	s_movk_i32 s2, 0xf0
	v_and_or_b32 v25, v14, s2, v23
	v_lshl_add_u32 v25, v25, 3, v78
	s_movk_i32 s2, 0x1f0
	s_waitcnt vmcnt(0) lgkmcnt(0)
	v_pk_mul_f32 v[54:55], v[26:27], v[50:51] op_sel:[0,1]
	s_nop 0
	v_pk_fma_f32 v[56:57], v[26:27], v[50:51], v[54:55] op_sel:[0,0,1] op_sel_hi:[1,1,0] neg_lo:[0,0,1] neg_hi:[0,0,1]
	v_pk_fma_f32 v[50:51], v[26:27], v[50:51], v[54:55] op_sel:[0,0,1] op_sel_hi:[1,0,0]
	ds_read_b64 v[54:55], v37
	v_mov_b32_e32 v57, v51
	ds_read_b64 v[50:51], v10
	ds_read_b64 v[66:67], v79
	ds_read_b64 v[68:69], v35 offset:15232
	s_waitcnt lgkmcnt(3)
	v_pk_add_f32 v[70:71], v[54:55], v[56:57] neg_lo:[0,1] neg_hi:[0,1]
	s_nop 0
	v_pk_fma_f32 v[72:73], v[54:55], 2.0, v[70:71] op_sel_hi:[1,0,1] neg_lo:[0,0,1] neg_hi:[0,0,1]
	ds_read_b64 v[74:75], v13
	ds_read_b64 v[76:77], v12
	;; [unrolled: 1-line block ×6, first 2 shown]
	ds_read2_b64 v[54:57], v6 offset0:80 offset1:192
	ds_read2_b64 v[58:61], v5 offset0:48 offset1:160
	;; [unrolled: 1-line block ×3, first 2 shown]
	s_waitcnt lgkmcnt(0)
	s_barrier
	ds_write2_b64 v25, v[72:73], v[70:71] offset1:8
	v_pk_mul_f32 v[70:71], v[26:27], v[52:53] op_sel:[0,1]
	v_and_or_b32 v25, v16, s2, v23
	v_pk_fma_f32 v[72:73], v[26:27], v[52:53], v[70:71] op_sel:[0,0,1] op_sel_hi:[1,1,0] neg_lo:[0,0,1] neg_hi:[0,0,1]
	v_pk_fma_f32 v[52:53], v[26:27], v[52:53], v[70:71] op_sel:[0,0,1] op_sel_hi:[1,0,0]
	v_lshl_add_u32 v25, v25, 3, v78
	v_mov_b32_e32 v73, v53
	v_pk_add_f32 v[52:53], v[66:67], v[72:73] neg_lo:[0,1] neg_hi:[0,1]
	s_movk_i32 s2, 0x3f0
	v_pk_fma_f32 v[66:67], v[66:67], 2.0, v[52:53] op_sel_hi:[1,0,1] neg_lo:[0,0,1] neg_hi:[0,0,1]
	ds_write2_b64 v25, v[66:67], v[52:53] offset1:8
	v_pk_mul_f32 v[52:53], v[26:27], v[54:55] op_sel:[0,1]
	v_and_or_b32 v25, v17, s2, v23
	v_pk_fma_f32 v[66:67], v[26:27], v[54:55], v[52:53] op_sel:[0,0,1] op_sel_hi:[1,1,0] neg_lo:[0,0,1] neg_hi:[0,0,1]
	v_pk_fma_f32 v[52:53], v[26:27], v[54:55], v[52:53] op_sel:[0,0,1] op_sel_hi:[1,0,0]
	v_lshl_add_u32 v25, v25, 3, v78
	v_mov_b32_e32 v67, v53
	v_pk_add_f32 v[52:53], v[86:87], v[66:67] neg_lo:[0,1] neg_hi:[0,1]
	s_nop 0
	v_pk_fma_f32 v[54:55], v[86:87], 2.0, v[52:53] op_sel_hi:[1,0,1] neg_lo:[0,0,1] neg_hi:[0,0,1]
	ds_write2_b64 v25, v[54:55], v[52:53] offset1:8
	v_pk_mul_f32 v[52:53], v[26:27], v[56:57] op_sel:[0,1]
	v_and_or_b32 v25, v18, s2, v23
	v_pk_fma_f32 v[54:55], v[26:27], v[56:57], v[52:53] op_sel:[0,0,1] op_sel_hi:[1,1,0] neg_lo:[0,0,1] neg_hi:[0,0,1]
	v_pk_fma_f32 v[52:53], v[26:27], v[56:57], v[52:53] op_sel:[0,0,1] op_sel_hi:[1,0,0]
	v_lshl_add_u32 v25, v25, 3, v78
	v_mov_b32_e32 v55, v53
	v_pk_add_f32 v[52:53], v[50:51], v[54:55] neg_lo:[0,1] neg_hi:[0,1]
	s_movk_i32 s2, 0x7f0
	v_pk_fma_f32 v[50:51], v[50:51], 2.0, v[52:53] op_sel_hi:[1,0,1] neg_lo:[0,0,1] neg_hi:[0,0,1]
	ds_write2_b64 v25, v[50:51], v[52:53] offset1:8
	v_pk_mul_f32 v[50:51], v[26:27], v[58:59] op_sel:[0,1]
	v_and_or_b32 v25, v20, s2, v23
	v_pk_fma_f32 v[52:53], v[26:27], v[58:59], v[50:51] op_sel:[0,0,1] op_sel_hi:[1,1,0] neg_lo:[0,0,1] neg_hi:[0,0,1]
	v_pk_fma_f32 v[50:51], v[26:27], v[58:59], v[50:51] op_sel:[0,0,1] op_sel_hi:[1,0,0]
	v_lshl_add_u32 v25, v25, 3, v78
	v_mov_b32_e32 v53, v51
	v_pk_add_f32 v[50:51], v[84:85], v[52:53] neg_lo:[0,1] neg_hi:[0,1]
	v_pk_mul_f32 v[54:55], v[68:69], v[26:27] op_sel:[0,1]
	v_pk_fma_f32 v[52:53], v[84:85], 2.0, v[50:51] op_sel_hi:[1,0,1] neg_lo:[0,0,1] neg_hi:[0,0,1]
	ds_write2_b64 v25, v[52:53], v[50:51] offset1:8
	v_pk_mul_f32 v[50:51], v[26:27], v[60:61] op_sel:[0,1]
	v_and_or_b32 v25, v15, s3, v23
	v_pk_fma_f32 v[52:53], v[26:27], v[60:61], v[50:51] op_sel:[0,0,1] op_sel_hi:[1,1,0] neg_lo:[0,0,1] neg_hi:[0,0,1]
	v_pk_fma_f32 v[50:51], v[26:27], v[60:61], v[50:51] op_sel:[0,0,1] op_sel_hi:[1,0,0]
	v_lshl_add_u32 v25, v25, 3, v78
	v_mov_b32_e32 v53, v51
	v_pk_add_f32 v[50:51], v[82:83], v[52:53] neg_lo:[0,1] neg_hi:[0,1]
	v_pk_fma_f32 v[56:57], v[68:69], v[26:27], v[54:55] op_sel:[0,0,1] op_sel_hi:[1,1,0] neg_lo:[0,0,1] neg_hi:[0,0,1]
	v_pk_fma_f32 v[52:53], v[82:83], 2.0, v[50:51] op_sel_hi:[1,0,1] neg_lo:[0,0,1] neg_hi:[0,0,1]
	ds_write2_b64 v25, v[52:53], v[50:51] offset1:8
	v_pk_mul_f32 v[50:51], v[26:27], v[62:63] op_sel:[0,1]
	v_and_or_b32 v25, v19, s2, v23
	v_pk_fma_f32 v[52:53], v[26:27], v[62:63], v[50:51] op_sel:[0,0,1] op_sel_hi:[1,1,0] neg_lo:[0,0,1] neg_hi:[0,0,1]
	v_pk_fma_f32 v[50:51], v[26:27], v[62:63], v[50:51] op_sel:[0,0,1] op_sel_hi:[1,0,0]
	v_lshl_add_u32 v25, v25, 3, v78
	v_mov_b32_e32 v53, v51
	v_pk_add_f32 v[50:51], v[80:81], v[52:53] neg_lo:[0,1] neg_hi:[0,1]
	s_movk_i32 s3, 0x5e0
	v_pk_fma_f32 v[52:53], v[80:81], 2.0, v[50:51] op_sel_hi:[1,0,1] neg_lo:[0,0,1] neg_hi:[0,0,1]
	ds_write2_b64 v25, v[52:53], v[50:51] offset1:8
	v_pk_mul_f32 v[50:51], v[64:65], v[26:27] op_sel:[0,1]
	v_and_or_b32 v25, v21, s2, v23
	v_pk_fma_f32 v[52:53], v[64:65], v[26:27], v[50:51] op_sel:[0,0,1] op_sel_hi:[1,1,0] neg_lo:[0,0,1] neg_hi:[0,0,1]
	v_pk_fma_f32 v[50:51], v[64:65], v[26:27], v[50:51] op_sel:[0,0,1] op_sel_hi:[1,0,0]
	v_pk_fma_f32 v[26:27], v[68:69], v[26:27], v[54:55] op_sel:[0,0,1] op_sel_hi:[1,0,0]
	v_mov_b32_e32 v53, v51
	v_mov_b32_e32 v57, v27
	v_and_or_b32 v23, v22, s2, v23
	v_pk_add_f32 v[50:51], v[76:77], v[52:53] neg_lo:[0,1] neg_hi:[0,1]
	v_lshl_add_u32 v25, v25, 3, v78
	v_lshl_add_u32 v23, v23, 3, v78
	v_pk_add_f32 v[26:27], v[74:75], v[56:57] neg_lo:[0,1] neg_hi:[0,1]
	v_pk_fma_f32 v[52:53], v[76:77], 2.0, v[50:51] op_sel_hi:[1,0,1] neg_lo:[0,0,1] neg_hi:[0,0,1]
	v_pk_fma_f32 v[54:55], v[74:75], 2.0, v[26:27] op_sel_hi:[1,0,1] neg_lo:[0,0,1] neg_hi:[0,0,1]
	ds_write2_b64 v25, v[52:53], v[50:51] offset1:8
	ds_write2_b64 v23, v[54:55], v[26:27] offset1:8
	v_and_b32_e32 v23, 15, v30
	v_lshlrev_b32_e32 v25, 3, v23
	s_waitcnt lgkmcnt(0)
	s_barrier
	global_load_dwordx2 v[26:27], v25, s[8:9] offset:112
	ds_read2_b64 v[50:53], v7 offset0:112 offset1:224
	s_movk_i32 s2, 0xe0
	v_and_or_b32 v14, v14, s2, v23
	v_lshl_add_u32 v14, v14, 3, v78
	s_movk_i32 s2, 0x1e0
	s_waitcnt vmcnt(0) lgkmcnt(0)
	v_pk_mul_f32 v[54:55], v[26:27], v[50:51] op_sel:[0,1]
	s_nop 0
	v_pk_fma_f32 v[56:57], v[26:27], v[50:51], v[54:55] op_sel:[0,0,1] op_sel_hi:[1,1,0] neg_lo:[0,0,1] neg_hi:[0,0,1]
	v_pk_fma_f32 v[50:51], v[26:27], v[50:51], v[54:55] op_sel:[0,0,1] op_sel_hi:[1,0,0]
	s_nop 0
	v_mov_b32_e32 v57, v51
	ds_read_b64 v[50:51], v37
	ds_read_b64 v[66:67], v10
	;; [unrolled: 1-line block ×3, first 2 shown]
	ds_read_b64 v[70:71], v35 offset:15232
	s_waitcnt lgkmcnt(3)
	v_pk_add_f32 v[72:73], v[50:51], v[56:57] neg_lo:[0,1] neg_hi:[0,1]
	s_nop 0
	v_pk_fma_f32 v[50:51], v[50:51], 2.0, v[72:73] op_sel_hi:[1,0,1] neg_lo:[0,0,1] neg_hi:[0,0,1]
	ds_read_b64 v[74:75], v13
	ds_read_b64 v[76:77], v12
	;; [unrolled: 1-line block ×6, first 2 shown]
	ds_read2_b64 v[54:57], v6 offset0:80 offset1:192
	ds_read2_b64 v[58:61], v5 offset0:48 offset1:160
	;; [unrolled: 1-line block ×3, first 2 shown]
	s_waitcnt lgkmcnt(0)
	s_barrier
	ds_write2_b64 v14, v[50:51], v[72:73] offset1:16
	v_pk_mul_f32 v[50:51], v[26:27], v[52:53] op_sel:[0,1]
	v_and_or_b32 v14, v16, s2, v23
	v_pk_fma_f32 v[72:73], v[26:27], v[52:53], v[50:51] op_sel:[0,0,1] op_sel_hi:[1,1,0] neg_lo:[0,0,1] neg_hi:[0,0,1]
	v_pk_fma_f32 v[50:51], v[26:27], v[52:53], v[50:51] op_sel:[0,0,1] op_sel_hi:[1,0,0]
	v_lshl_add_u32 v14, v14, 3, v78
	v_mov_b32_e32 v73, v51
	v_pk_add_f32 v[50:51], v[68:69], v[72:73] neg_lo:[0,1] neg_hi:[0,1]
	s_movk_i32 s2, 0x3e0
	v_pk_fma_f32 v[52:53], v[68:69], 2.0, v[50:51] op_sel_hi:[1,0,1] neg_lo:[0,0,1] neg_hi:[0,0,1]
	ds_write2_b64 v14, v[52:53], v[50:51] offset1:16
	v_pk_mul_f32 v[50:51], v[26:27], v[54:55] op_sel:[0,1]
	v_and_or_b32 v14, v17, s2, v23
	v_pk_fma_f32 v[52:53], v[26:27], v[54:55], v[50:51] op_sel:[0,0,1] op_sel_hi:[1,1,0] neg_lo:[0,0,1] neg_hi:[0,0,1]
	v_pk_fma_f32 v[50:51], v[26:27], v[54:55], v[50:51] op_sel:[0,0,1] op_sel_hi:[1,0,0]
	v_lshl_add_u32 v14, v14, 3, v78
	v_mov_b32_e32 v53, v51
	v_pk_add_f32 v[16:17], v[86:87], v[52:53] neg_lo:[0,1] neg_hi:[0,1]
	v_pk_mul_f32 v[52:53], v[64:65], v[26:27] op_sel:[0,1]
	v_pk_fma_f32 v[50:51], v[86:87], 2.0, v[16:17] op_sel_hi:[1,0,1] neg_lo:[0,0,1] neg_hi:[0,0,1]
	ds_write2_b64 v14, v[50:51], v[16:17] offset1:16
	v_pk_mul_f32 v[16:17], v[26:27], v[56:57] op_sel:[0,1]
	v_and_or_b32 v14, v18, s2, v23
	v_pk_fma_f32 v[50:51], v[26:27], v[56:57], v[16:17] op_sel:[0,0,1] op_sel_hi:[1,1,0] neg_lo:[0,0,1] neg_hi:[0,0,1]
	v_pk_fma_f32 v[16:17], v[26:27], v[56:57], v[16:17] op_sel:[0,0,1] op_sel_hi:[1,0,0]
	v_lshl_add_u32 v14, v14, 3, v78
	v_mov_b32_e32 v51, v17
	v_pk_add_f32 v[16:17], v[66:67], v[50:51] neg_lo:[0,1] neg_hi:[0,1]
	s_movk_i32 s2, 0x7e0
	v_pk_fma_f32 v[50:51], v[66:67], 2.0, v[16:17] op_sel_hi:[1,0,1] neg_lo:[0,0,1] neg_hi:[0,0,1]
	ds_write2_b64 v14, v[50:51], v[16:17] offset1:16
	v_pk_mul_f32 v[16:17], v[26:27], v[58:59] op_sel:[0,1]
	v_and_or_b32 v14, v20, s2, v23
	v_pk_fma_f32 v[50:51], v[26:27], v[58:59], v[16:17] op_sel:[0,0,1] op_sel_hi:[1,1,0] neg_lo:[0,0,1] neg_hi:[0,0,1]
	v_pk_fma_f32 v[16:17], v[26:27], v[58:59], v[16:17] op_sel:[0,0,1] op_sel_hi:[1,0,0]
	v_lshl_add_u32 v14, v14, 3, v78
	v_mov_b32_e32 v51, v17
	v_pk_add_f32 v[16:17], v[84:85], v[50:51] neg_lo:[0,1] neg_hi:[0,1]
	v_pk_mul_f32 v[56:57], v[26:27], v[60:61] op_sel:[0,1]
	v_pk_fma_f32 v[50:51], v[84:85], 2.0, v[16:17] op_sel_hi:[1,0,1] neg_lo:[0,0,1] neg_hi:[0,0,1]
	ds_write2_b64 v14, v[50:51], v[16:17] offset1:16
	v_pk_mul_f32 v[16:17], v[26:27], v[62:63] op_sel:[0,1]
	v_pk_fma_f32 v[58:59], v[26:27], v[60:61], v[56:57] op_sel:[0,0,1] op_sel_hi:[1,1,0] neg_lo:[0,0,1] neg_hi:[0,0,1]
	v_pk_fma_f32 v[50:51], v[26:27], v[62:63], v[16:17] op_sel:[0,0,1] op_sel_hi:[1,1,0] neg_lo:[0,0,1] neg_hi:[0,0,1]
	v_pk_fma_f32 v[16:17], v[26:27], v[62:63], v[16:17] op_sel:[0,0,1] op_sel_hi:[1,0,0]
	v_pk_fma_f32 v[56:57], v[26:27], v[60:61], v[56:57] op_sel:[0,0,1] op_sel_hi:[1,0,0]
	v_pk_mul_f32 v[60:61], v[70:71], v[26:27] op_sel:[0,1]
	v_pk_fma_f32 v[54:55], v[64:65], v[26:27], v[52:53] op_sel:[0,0,1] op_sel_hi:[1,1,0] neg_lo:[0,0,1] neg_hi:[0,0,1]
	v_pk_fma_f32 v[52:53], v[64:65], v[26:27], v[52:53] op_sel:[0,0,1] op_sel_hi:[1,0,0]
	v_pk_fma_f32 v[62:63], v[70:71], v[26:27], v[60:61] op_sel:[0,0,1] op_sel_hi:[1,1,0] neg_lo:[0,0,1] neg_hi:[0,0,1]
	v_pk_fma_f32 v[26:27], v[70:71], v[26:27], v[60:61] op_sel:[0,0,1] op_sel_hi:[1,0,0]
	v_mov_b32_e32 v51, v17
	v_and_or_b32 v14, v15, s3, v23
	v_and_or_b32 v15, v19, s2, v23
	v_mov_b32_e32 v59, v57
	v_mov_b32_e32 v63, v27
	;; [unrolled: 1-line block ×3, first 2 shown]
	v_lshl_add_u32 v25, v14, 3, v78
	v_lshl_add_u32 v39, v15, 3, v78
	v_pk_add_f32 v[14:15], v[80:81], v[50:51] neg_lo:[0,1] neg_hi:[0,1]
	v_pk_add_f32 v[50:51], v[82:83], v[58:59] neg_lo:[0,1] neg_hi:[0,1]
	v_and_or_b32 v16, v21, s2, v23
	v_and_or_b32 v17, v22, s2, v23
	v_pk_add_f32 v[18:19], v[74:75], v[62:63] neg_lo:[0,1] neg_hi:[0,1]
	v_pk_add_f32 v[22:23], v[76:77], v[54:55] neg_lo:[0,1] neg_hi:[0,1]
	v_pk_fma_f32 v[52:53], v[82:83], 2.0, v[50:51] op_sel_hi:[1,0,1] neg_lo:[0,0,1] neg_hi:[0,0,1]
	v_lshl_add_u32 v41, v16, 3, v78
	v_lshl_add_u32 v47, v17, 3, v78
	v_pk_fma_f32 v[16:17], v[80:81], 2.0, v[14:15] op_sel_hi:[1,0,1] neg_lo:[0,0,1] neg_hi:[0,0,1]
	v_pk_fma_f32 v[20:21], v[74:75], 2.0, v[18:19] op_sel_hi:[1,0,1] neg_lo:[0,0,1] neg_hi:[0,0,1]
	v_pk_fma_f32 v[26:27], v[76:77], 2.0, v[22:23] op_sel_hi:[1,0,1] neg_lo:[0,0,1] neg_hi:[0,0,1]
	ds_write2_b64 v25, v[52:53], v[50:51] offset1:16
	ds_write2_b64 v39, v[16:17], v[14:15] offset1:16
	;; [unrolled: 1-line block ×4, first 2 shown]
	v_and_b32_e32 v25, 31, v46
	v_lshlrev_b32_e32 v14, 4, v25
	s_waitcnt lgkmcnt(0)
	s_barrier
	global_load_dwordx4 v[14:17], v14, s[8:9] offset:240
	v_and_b32_e32 v39, 31, v48
	v_lshlrev_b32_e32 v18, 4, v39
	global_load_dwordx4 v[18:21], v18, s[8:9] offset:240
	v_and_b32_e32 v41, 31, v30
	v_lshlrev_b32_e32 v22, 4, v41
	;; [unrolled: 3-line block ×3, first 2 shown]
	global_load_dwordx4 v[54:57], v22, s[8:9] offset:240
	ds_read_b64 v[26:27], v35 offset:15232
	ds_read2_b64 v[58:61], v6 offset0:80 offset1:192
	ds_read_b64 v[66:67], v79
	ds_read_b64 v[68:69], v10
	ds_read_b64 v[70:71], v37
	ds_read_b64 v[80:81], v12
	s_mov_b32 s2, 0x3f5db3d7
	s_waitcnt vmcnt(3)
	v_mov_b32_e32 v62, v17
	s_waitcnt lgkmcnt(5)
	v_pk_mul_f32 v[72:73], v[26:27], v[62:63] op_sel_hi:[1,0]
	ds_read2_b64 v[62:65], v7 offset0:112 offset1:224
	s_waitcnt lgkmcnt(5)
	v_pk_mul_f32 v[22:23], v[58:59], v[14:15] op_sel:[0,1]
	v_pk_fma_f32 v[74:75], v[26:27], v[16:17], v[72:73] op_sel:[0,0,1] op_sel_hi:[1,1,0] neg_lo:[0,0,1] neg_hi:[0,0,1]
	v_pk_fma_f32 v[26:27], v[26:27], v[16:17], v[72:73] op_sel:[0,0,1] op_sel_hi:[1,0,0]
	v_pk_fma_f32 v[72:73], v[58:59], v[14:15], v[22:23] op_sel:[0,0,1] op_sel_hi:[1,1,0] neg_lo:[0,0,1] neg_hi:[0,0,1]
	v_pk_fma_f32 v[22:23], v[58:59], v[14:15], v[22:23] op_sel:[0,0,1] op_sel_hi:[1,0,0]
	ds_read2_b64 v[14:17], v4 offset0:16 offset1:128
	s_waitcnt vmcnt(2) lgkmcnt(1)
	v_pk_mul_f32 v[58:59], v[62:63], v[18:19] op_sel:[0,1]
	s_waitcnt vmcnt(0)
	v_pk_mul_f32 v[86:87], v[54:55], v[80:81] op_sel:[0,1]
	v_pk_fma_f32 v[76:77], v[62:63], v[18:19], v[58:59] op_sel:[0,0,1] op_sel_hi:[1,1,0] neg_lo:[0,0,1] neg_hi:[0,0,1]
	v_pk_fma_f32 v[58:59], v[62:63], v[18:19], v[58:59] op_sel:[0,0,1] op_sel_hi:[1,0,0]
	v_mov_b32_e32 v18, v21
	s_waitcnt lgkmcnt(0)
	v_pk_mul_f32 v[18:19], v[14:15], v[18:19] op_sel_hi:[1,0]
	v_pk_fma_f32 v[88:89], v[54:55], v[80:81], v[86:87] op_sel:[0,0,1] op_sel_hi:[1,1,0] neg_lo:[0,0,1] neg_hi:[0,0,1]
	v_pk_fma_f32 v[62:63], v[14:15], v[20:21], v[18:19] op_sel:[0,0,1] op_sel_hi:[1,1,0] neg_lo:[0,0,1] neg_hi:[0,0,1]
	v_pk_fma_f32 v[14:15], v[14:15], v[20:21], v[18:19] op_sel:[0,0,1] op_sel_hi:[1,0,0]
	v_pk_mul_f32 v[18:19], v[64:65], v[50:51] op_sel:[0,1]
	v_pk_fma_f32 v[54:55], v[54:55], v[80:81], v[86:87] op_sel:[0,0,1] op_sel_hi:[1,0,0]
	v_pk_fma_f32 v[82:83], v[64:65], v[50:51], v[18:19] op_sel:[0,0,1] op_sel_hi:[1,1,0] neg_lo:[0,0,1] neg_hi:[0,0,1]
	v_pk_fma_f32 v[64:65], v[64:65], v[50:51], v[18:19] op_sel:[0,0,1] op_sel_hi:[1,0,0]
	ds_read2_b64 v[18:21], v5 offset0:48 offset1:160
	ds_read_b64 v[84:85], v11
	ds_read2_b32 v[92:93], v13 offset1:1
	v_mov_b32_e32 v14, v53
	v_mov_b32_e32 v89, v55
	s_waitcnt lgkmcnt(2)
	v_pk_mul_f32 v[80:81], v[56:57], v[18:19] op_sel:[0,1]
	s_waitcnt lgkmcnt(1)
	v_pk_mul_f32 v[96:97], v[50:51], v[84:85] op_sel:[0,1]
	v_pk_fma_f32 v[86:87], v[56:57], v[18:19], v[80:81] op_sel:[0,0,1] op_sel_hi:[1,1,0] neg_lo:[0,0,1] neg_hi:[0,0,1]
	v_pk_fma_f32 v[18:19], v[56:57], v[18:19], v[80:81] op_sel:[0,0,1] op_sel_hi:[1,0,0]
	v_pk_mul_f32 v[56:57], v[52:53], v[60:61] op_sel:[0,1]
	v_pk_fma_f32 v[98:99], v[50:51], v[84:85], v[96:97] op_sel:[0,0,1] op_sel_hi:[1,1,0] neg_lo:[0,0,1] neg_hi:[0,0,1]
	v_pk_fma_f32 v[80:81], v[52:53], v[60:61], v[56:57] op_sel:[0,0,1] op_sel_hi:[1,1,0] neg_lo:[0,0,1] neg_hi:[0,0,1]
	v_pk_fma_f32 v[56:57], v[52:53], v[60:61], v[56:57] op_sel:[0,0,1] op_sel_hi:[1,0,0]
	v_pk_mul_f32 v[60:61], v[16:17], v[14:15] op_sel_hi:[1,0]
	v_mov_b32_e32 v81, v57
	v_pk_fma_f32 v[90:91], v[16:17], v[52:53], v[60:61] op_sel:[0,0,1] op_sel_hi:[1,1,0] neg_lo:[0,0,1] neg_hi:[0,0,1]
	v_pk_fma_f32 v[16:17], v[16:17], v[52:53], v[60:61] op_sel:[0,0,1] op_sel_hi:[1,0,0]
	v_pk_mul_f32 v[60:61], v[20:21], v[14:15] op_sel_hi:[1,0]
	s_waitcnt lgkmcnt(0)
	v_mov_b32_e32 v14, v93
	v_pk_fma_f32 v[94:95], v[20:21], v[52:53], v[60:61] op_sel:[0,0,1] op_sel_hi:[1,1,0] neg_lo:[0,0,1] neg_hi:[0,0,1]
	v_pk_fma_f32 v[20:21], v[20:21], v[52:53], v[60:61] op_sel:[0,0,1] op_sel_hi:[1,0,0]
	v_pk_mul_f32 v[52:53], v[14:15], v[50:51] op_sel_hi:[0,1]
	v_pk_fma_f32 v[60:61], v[50:51], v[92:93], v[52:53] op_sel:[0,0,1] op_sel_hi:[1,1,0] neg_lo:[0,0,1] neg_hi:[0,0,1]
	v_pk_fma_f32 v[52:53], v[50:51], v[92:93], v[52:53] op_sel:[0,0,1] op_sel_hi:[1,0,0]
	v_pk_fma_f32 v[50:51], v[50:51], v[84:85], v[96:97] op_sel:[0,0,1] op_sel_hi:[1,0,0]
	v_lshrrev_b32_e32 v14, 5, v30
	v_mov_b32_e32 v99, v51
	v_pk_add_f32 v[50:51], v[98:99], v[80:81]
	v_pk_add_f32 v[56:57], v[70:71], v[98:99]
	v_pk_fma_f32 v[50:51], v[50:51], 0.5, v[70:71] op_sel_hi:[1,0,1] neg_lo:[1,0,0] neg_hi:[1,0,0]
	v_pk_add_f32 v[70:71], v[98:99], v[80:81] neg_lo:[0,1] neg_hi:[0,1]
	v_mul_u32_u24_e32 v14, 0x60, v14
	v_pk_mul_f32 v[70:71], v[70:71], s[2:3] op_sel_hi:[1,0]
	v_pk_add_f32 v[56:57], v[56:57], v[80:81]
	v_pk_add_f32 v[80:81], v[50:51], v[70:71] op_sel:[0,1] op_sel_hi:[1,0]
	v_pk_add_f32 v[50:51], v[50:51], v[70:71] op_sel:[0,1] op_sel_hi:[1,0] neg_lo:[0,1] neg_hi:[0,1]
	v_or_b32_e32 v14, v14, v41
	v_mov_b32_e32 v87, v19
	v_lshl_add_u32 v14, v14, 3, v78
	v_mov_b32_e32 v96, v80
	v_mov_b32_e32 v97, v51
	;; [unrolled: 1-line block ×3, first 2 shown]
	v_pk_add_f32 v[54:55], v[88:89], v[86:87] neg_lo:[0,1] neg_hi:[0,1]
	ds_read_b64 v[92:93], v9
	ds_read_b64 v[70:71], v8
	;; [unrolled: 1-line block ×3, first 2 shown]
	s_waitcnt lgkmcnt(0)
	s_barrier
	ds_write2_b64 v14, v[56:57], v[96:97] offset1:32
	ds_write_b64 v14, v[50:51] offset:512
	v_pk_add_f32 v[18:19], v[88:89], v[86:87]
	v_pk_mul_f32 v[54:55], v[54:55], s[2:3] op_sel_hi:[1,0]
	s_movk_i32 s3, 0x60
	v_lshrrev_b32_e32 v14, 5, v34
	v_pk_fma_f32 v[18:19], v[18:19], 0.5, v[66:67] op_sel_hi:[1,0,1] neg_lo:[1,0,0] neg_hi:[1,0,0]
	v_mul_lo_u32 v14, v14, s3
	v_pk_add_f32 v[50:51], v[66:67], v[88:89]
	v_pk_add_f32 v[56:57], v[18:19], v[54:55] op_sel:[0,1] op_sel_hi:[1,0]
	v_pk_add_f32 v[18:19], v[18:19], v[54:55] op_sel:[0,1] op_sel_hi:[1,0] neg_lo:[0,1] neg_hi:[0,1]
	v_or_b32_e32 v14, v14, v47
	v_pk_add_f32 v[50:51], v[50:51], v[86:87]
	v_lshl_add_u32 v14, v14, 3, v78
	v_mov_b32_e32 v54, v56
	v_mov_b32_e32 v55, v19
	;; [unrolled: 1-line block ×5, first 2 shown]
	ds_write2_b64 v14, v[50:51], v[54:55] offset1:32
	ds_write_b64 v14, v[18:19] offset:512
	v_pk_add_f32 v[18:19], v[60:61], v[94:95]
	v_pk_add_f32 v[50:51], v[60:61], v[94:95] neg_lo:[0,1] neg_hi:[0,1]
	v_lshrrev_b32_e32 v14, 5, v44
	v_pk_fma_f32 v[18:19], v[18:19], 0.5, v[84:85] op_sel_hi:[1,0,1] neg_lo:[1,0,0] neg_hi:[1,0,0]
	v_pk_mul_f32 v[50:51], v[50:51], s[2:3] op_sel_hi:[1,0]
	v_mul_lo_u32 v14, v14, s3
	v_pk_add_f32 v[20:21], v[84:85], v[60:61]
	v_pk_add_f32 v[52:53], v[18:19], v[50:51] op_sel:[0,1] op_sel_hi:[1,0]
	v_pk_add_f32 v[18:19], v[18:19], v[50:51] op_sel:[0,1] op_sel_hi:[1,0] neg_lo:[0,1] neg_hi:[0,1]
	v_or_b32_e32 v14, v14, v41
	v_pk_add_f32 v[20:21], v[20:21], v[94:95]
	v_lshl_add_u32 v14, v14, 3, v78
	v_mov_b32_e32 v50, v52
	v_mov_b32_e32 v51, v19
	;; [unrolled: 1-line block ×5, first 2 shown]
	ds_write2_b64 v14, v[20:21], v[50:51] offset1:32
	ds_write_b64 v14, v[18:19] offset:512
	v_pk_add_f32 v[14:15], v[76:77], v[62:63]
	v_pk_add_f32 v[20:21], v[76:77], v[62:63] neg_lo:[0,1] neg_hi:[0,1]
	v_pk_fma_f32 v[14:15], v[14:15], 0.5, v[68:69] op_sel_hi:[1,0,1] neg_lo:[1,0,0] neg_hi:[1,0,0]
	v_pk_mul_f32 v[20:21], v[20:21], s[2:3] op_sel_hi:[1,0]
	v_lshrrev_b32_e32 v16, 5, v48
	v_pk_add_f32 v[50:51], v[14:15], v[20:21] op_sel:[0,1] op_sel_hi:[1,0]
	v_pk_add_f32 v[14:15], v[14:15], v[20:21] op_sel:[0,1] op_sel_hi:[1,0] neg_lo:[0,1] neg_hi:[0,1]
	v_mul_lo_u32 v16, v16, s3
	v_mov_b32_e32 v21, v15
	v_lshrrev_b32_e32 v15, 5, v42
	v_mul_lo_u32 v15, v15, s3
	v_or_b32_e32 v15, v15, v41
	v_lshl_add_u32 v26, v15, 3, v78
	v_lshrrev_b32_e32 v15, 5, v46
	v_mul_lo_u32 v15, v15, s3
	v_pk_add_f32 v[18:19], v[68:69], v[76:77]
	v_or_b32_e32 v16, v16, v39
	v_or_b32_e32 v15, v15, v25
	v_pk_add_f32 v[18:19], v[18:19], v[62:63]
	v_lshl_add_u32 v22, v16, 3, v78
	v_mov_b32_e32 v20, v50
	v_mov_b32_e32 v83, v65
	v_lshl_add_u32 v25, v15, 3, v78
	v_mov_b32_e32 v91, v17
	v_mov_b32_e32 v15, v51
	ds_write2_b64 v22, v[18:19], v[20:21] offset1:32
	ds_write_b64 v22, v[14:15] offset:512
	v_pk_add_f32 v[14:15], v[82:83], v[90:91]
	v_pk_add_f32 v[20:21], v[82:83], v[90:91] neg_lo:[0,1] neg_hi:[0,1]
	v_pk_fma_f32 v[14:15], v[14:15], 0.5, v[70:71] op_sel_hi:[1,0,1] neg_lo:[1,0,0] neg_hi:[1,0,0]
	v_pk_mul_f32 v[20:21], v[20:21], s[2:3] op_sel_hi:[1,0]
	v_mov_b32_e32 v73, v23
	v_pk_add_f32 v[18:19], v[70:71], v[82:83]
	v_pk_add_f32 v[22:23], v[14:15], v[20:21] op_sel:[0,1] op_sel_hi:[1,0]
	v_pk_add_f32 v[14:15], v[14:15], v[20:21] op_sel:[0,1] op_sel_hi:[1,0] neg_lo:[0,1] neg_hi:[0,1]
	v_mov_b32_e32 v75, v27
	v_pk_add_f32 v[18:19], v[18:19], v[90:91]
	v_mov_b32_e32 v20, v22
	v_mov_b32_e32 v21, v15
	;; [unrolled: 1-line block ×3, first 2 shown]
	ds_write2_b64 v26, v[18:19], v[20:21] offset1:32
	ds_write_b64 v26, v[14:15] offset:512
	v_pk_add_f32 v[14:15], v[72:73], v[74:75]
	v_pk_add_f32 v[18:19], v[72:73], v[74:75] neg_lo:[0,1] neg_hi:[0,1]
	v_pk_fma_f32 v[14:15], v[14:15], 0.5, v[92:93] op_sel_hi:[1,0,1] neg_lo:[1,0,0] neg_hi:[1,0,0]
	v_pk_mul_f32 v[18:19], v[18:19], s[2:3] op_sel_hi:[1,0]
	v_pk_add_f32 v[16:17], v[92:93], v[72:73]
	v_pk_add_f32 v[20:21], v[14:15], v[18:19] op_sel:[0,1] op_sel_hi:[1,0]
	v_pk_add_f32 v[14:15], v[14:15], v[18:19] op_sel:[0,1] op_sel_hi:[1,0] neg_lo:[0,1] neg_hi:[0,1]
	v_pk_add_f32 v[16:17], v[16:17], v[74:75]
	v_mov_b32_e32 v19, v15
	v_mov_b32_e32 v15, v21
	;; [unrolled: 1-line block ×3, first 2 shown]
	ds_write_b64 v25, v[14:15] offset:512
	v_mul_u32_u24_sdwa v14, v42, s10 dst_sel:DWORD dst_unused:UNUSED_PAD src0_sel:WORD_0 src1_sel:DWORD
	ds_write2_b64 v25, v[16:17], v[18:19] offset1:32
	v_lshrrev_b32_e32 v25, 22, v14
	v_mul_lo_u16_e32 v14, 0x60, v25
	v_sub_u16_e32 v39, v42, v14
	v_mul_u32_u24_sdwa v18, v45, s10 dst_sel:DWORD dst_unused:UNUSED_PAD src0_sel:WORD_0 src1_sel:DWORD
	v_mul_u32_u24_sdwa v22, v44, s10 dst_sel:DWORD dst_unused:UNUSED_PAD src0_sel:WORD_0 src1_sel:DWORD
	v_lshlrev_b32_e32 v14, 4, v39
	v_lshrrev_b32_e32 v41, 22, v18
	v_lshrrev_b32_e32 v47, 22, v22
	s_waitcnt lgkmcnt(0)
	s_barrier
	global_load_dwordx4 v[14:17], v14, s[8:9] offset:752
	v_mul_lo_u16_e32 v18, 0x60, v41
	v_mul_lo_u16_e32 v22, 0x60, v47
	v_sub_u16_e32 v45, v45, v18
	v_sub_u16_e32 v49, v44, v22
	v_lshlrev_b32_e32 v18, 4, v45
	global_load_dwordx4 v[18:21], v18, s[8:9] offset:752
	v_lshlrev_b32_e32 v22, 4, v49
	global_load_dwordx4 v[50:53], v22, s[8:9] offset:752
	v_mul_lo_u16_sdwa v22, v34, s11 dst_sel:DWORD dst_unused:UNUSED_PAD src0_sel:BYTE_0 src1_sel:DWORD
	v_lshrrev_b16_e32 v96, 14, v22
	v_mul_lo_u16_e32 v22, 0x60, v96
	v_sub_u16_e32 v97, v34, v22
	v_mov_b32_e32 v22, 4
	v_lshlrev_b32_sdwa v22, v22, v97 dst_sel:DWORD dst_unused:UNUSED_PAD src0_sel:DWORD src1_sel:BYTE_0
	global_load_dwordx4 v[54:57], v22, s[8:9] offset:752
	v_mul_u32_u24_sdwa v22, v43, s10 dst_sel:DWORD dst_unused:UNUSED_PAD src0_sel:WORD_0 src1_sel:DWORD
	v_lshrrev_b32_e32 v98, 22, v22
	v_mul_lo_u16_e32 v22, 0x60, v98
	v_sub_u16_e32 v43, v43, v22
	v_lshlrev_b32_e32 v22, 4, v43
	global_load_dwordx4 v[58:61], v22, s[8:9] offset:752
	v_add_u32_e32 v22, 0xffffffa0, v30
	v_cmp_gt_u32_e32 vcc, s3, v30
	v_mov_b32_e32 v23, 0
	s_mov_b32 s10, 0x5040100
	v_cndmask_b32_e32 v99, v22, v30, vcc
	v_lshlrev_b32_e32 v22, 1, v99
	v_lshl_add_u64 v[26:27], v[22:23], 3, s[8:9]
	global_load_dwordx4 v[62:65], v[26:27], off offset:752
	ds_read2_b64 v[66:69], v7 offset0:112 offset1:224
	ds_read2_b64 v[70:73], v4 offset0:16 offset1:128
	s_waitcnt vmcnt(5) lgkmcnt(1)
	v_pk_mul_f32 v[26:27], v[68:69], v[14:15] op_sel:[0,1]
	s_nop 0
	v_pk_fma_f32 v[74:75], v[68:69], v[14:15], v[26:27] op_sel:[0,0,1] op_sel_hi:[1,1,0] neg_lo:[0,0,1] neg_hi:[0,0,1]
	v_pk_fma_f32 v[26:27], v[68:69], v[14:15], v[26:27] op_sel:[0,0,1] op_sel_hi:[1,0,0]
	v_mov_b32_e32 v14, v17
	s_waitcnt lgkmcnt(0)
	v_pk_mul_f32 v[14:15], v[72:73], v[14:15] op_sel_hi:[1,0]
	v_mov_b32_e32 v75, v27
	v_pk_fma_f32 v[68:69], v[72:73], v[16:17], v[14:15] op_sel:[0,0,1] op_sel_hi:[1,1,0] neg_lo:[0,0,1] neg_hi:[0,0,1]
	v_pk_fma_f32 v[72:73], v[72:73], v[16:17], v[14:15] op_sel:[0,0,1] op_sel_hi:[1,0,0]
	s_waitcnt vmcnt(4)
	v_pk_mul_f32 v[14:15], v[66:67], v[18:19] op_sel:[0,1]
	v_mov_b32_e32 v69, v73
	v_pk_fma_f32 v[76:77], v[66:67], v[18:19], v[14:15] op_sel:[0,0,1] op_sel_hi:[1,1,0] neg_lo:[0,0,1] neg_hi:[0,0,1]
	v_pk_fma_f32 v[18:19], v[66:67], v[18:19], v[14:15] op_sel:[0,0,1] op_sel_hi:[1,0,0]
	v_mov_b32_e32 v14, v21
	ds_read_b64 v[66:67], v13
	v_pk_mul_f32 v[14:15], v[70:71], v[14:15] op_sel_hi:[1,0]
	ds_read_b64 v[12:13], v12
	v_pk_fma_f32 v[80:81], v[70:71], v[20:21], v[14:15] op_sel:[0,0,1] op_sel_hi:[1,1,0] neg_lo:[0,0,1] neg_hi:[0,0,1]
	v_pk_fma_f32 v[20:21], v[70:71], v[20:21], v[14:15] op_sel:[0,0,1] op_sel_hi:[1,0,0]
	ds_read2_b64 v[14:17], v5 offset0:48 offset1:160
	s_waitcnt vmcnt(3) lgkmcnt(2)
	v_pk_mul_f32 v[70:71], v[66:67], v[50:51] op_sel:[0,1]
	v_mov_b32_e32 v18, v53
	v_pk_fma_f32 v[82:83], v[66:67], v[50:51], v[70:71] op_sel:[0,0,1] op_sel_hi:[1,1,0] neg_lo:[0,0,1] neg_hi:[0,0,1]
	v_pk_fma_f32 v[50:51], v[66:67], v[50:51], v[70:71] op_sel:[0,0,1] op_sel_hi:[1,0,0]
	s_waitcnt lgkmcnt(0)
	v_pk_mul_f32 v[66:67], v[16:17], v[18:19] op_sel_hi:[1,0]
	v_mov_b32_e32 v83, v51
	v_pk_fma_f32 v[70:71], v[16:17], v[52:53], v[66:67] op_sel:[0,0,1] op_sel_hi:[1,1,0] neg_lo:[0,0,1] neg_hi:[0,0,1]
	v_pk_fma_f32 v[16:17], v[16:17], v[52:53], v[66:67] op_sel:[0,0,1] op_sel_hi:[1,0,0]
	s_waitcnt vmcnt(2)
	v_pk_mul_f32 v[52:53], v[56:57], v[14:15] op_sel:[0,1]
	s_waitcnt vmcnt(1)
	v_mov_b32_e32 v16, v61
	v_pk_fma_f32 v[66:67], v[56:57], v[14:15], v[52:53] op_sel:[0,0,1] op_sel_hi:[1,1,0] neg_lo:[0,0,1] neg_hi:[0,0,1]
	v_pk_fma_f32 v[52:53], v[56:57], v[14:15], v[52:53] op_sel:[0,0,1] op_sel_hi:[1,0,0]
	ds_read_b64 v[56:57], v11
	v_pk_mul_f32 v[14:15], v[54:55], v[12:13] op_sel:[0,1]
	v_mov_b32_e32 v67, v53
	v_pk_fma_f32 v[84:85], v[54:55], v[12:13], v[14:15] op_sel:[0,0,1] op_sel_hi:[1,1,0] neg_lo:[0,0,1] neg_hi:[0,0,1]
	v_pk_fma_f32 v[54:55], v[54:55], v[12:13], v[14:15] op_sel:[0,0,1] op_sel_hi:[1,0,0]
	ds_read_b64 v[86:87], v35 offset:15232
	ds_read2_b64 v[12:15], v6 offset0:80 offset1:192
	ds_read_b64 v[6:7], v79
	ds_read_b64 v[10:11], v10
	;; [unrolled: 1-line block ×3, first 2 shown]
	s_waitcnt lgkmcnt(4)
	v_pk_mul_f32 v[90:91], v[86:87], v[16:17] op_sel_hi:[1,0]
	v_mov_b32_e32 v85, v55
	v_pk_fma_f32 v[92:93], v[86:87], v[60:61], v[90:91] op_sel:[0,0,1] op_sel_hi:[1,0,0]
	v_pk_fma_f32 v[60:61], v[86:87], v[60:61], v[90:91] op_sel:[0,0,1] op_sel_hi:[1,0,0] neg_lo:[0,0,1] neg_hi:[0,0,1]
	s_waitcnt lgkmcnt(3)
	v_pk_mul_f32 v[86:87], v[12:13], v[58:59] op_sel:[0,1]
	v_pk_add_f32 v[52:53], v[84:85], v[66:67] neg_lo:[0,1] neg_hi:[0,1]
	v_pk_fma_f32 v[90:91], v[12:13], v[58:59], v[86:87] op_sel:[0,0,1] op_sel_hi:[1,0,0]
	v_pk_fma_f32 v[12:13], v[12:13], v[58:59], v[86:87] op_sel:[0,0,1] op_sel_hi:[1,0,0] neg_lo:[0,0,1] neg_hi:[0,0,1]
	s_waitcnt vmcnt(0)
	v_pk_mul_f32 v[58:59], v[64:65], v[14:15] op_sel:[0,1]
	v_lshlrev_b32_e32 v13, 3, v99
	v_pk_fma_f32 v[86:87], v[64:65], v[14:15], v[58:59] op_sel:[0,0,1] op_sel_hi:[1,1,0] neg_lo:[0,0,1] neg_hi:[0,0,1]
	v_pk_fma_f32 v[14:15], v[64:65], v[14:15], v[58:59] op_sel:[0,0,1] op_sel_hi:[1,0,0]
	v_pk_mul_f32 v[64:65], v[62:63], v[56:57] op_sel:[0,1]
	v_mov_b32_e32 v87, v15
	v_pk_fma_f32 v[94:95], v[62:63], v[56:57], v[64:65] op_sel:[0,0,1] op_sel_hi:[1,1,0] neg_lo:[0,0,1] neg_hi:[0,0,1]
	v_pk_fma_f32 v[56:57], v[62:63], v[56:57], v[64:65] op_sel:[0,0,1] op_sel_hi:[1,0,0]
	ds_read_b64 v[58:59], v9
	v_mov_b32_e32 v95, v57
	v_pk_add_f32 v[62:63], v[94:95], v[86:87] neg_lo:[0,1] neg_hi:[0,1]
	v_pk_add_f32 v[14:15], v[94:95], v[86:87]
	v_pk_mul_f32 v[62:63], v[62:63], s[2:3] op_sel_hi:[1,0]
	s_movk_i32 s3, 0x5f
	v_mov_b32_e32 v9, 0x900
	v_cmp_lt_u32_e32 vcc, s3, v30
	s_waitcnt lgkmcnt(1)
	v_pk_fma_f32 v[14:15], v[14:15], 0.5, v[88:89] op_sel_hi:[1,0,1] neg_lo:[1,0,0] neg_hi:[1,0,0]
	v_pk_add_f32 v[56:57], v[88:89], v[94:95]
	v_cndmask_b32_e32 v9, 0, v9, vcc
	v_pk_add_f32 v[64:65], v[14:15], v[62:63] op_sel:[0,1] op_sel_hi:[1,0]
	v_pk_add_f32 v[14:15], v[14:15], v[62:63] op_sel:[0,1] op_sel_hi:[1,0] neg_lo:[0,1] neg_hi:[0,1]
	v_add_u32_e32 v9, 0, v9
	v_pk_add_f32 v[56:57], v[56:57], v[86:87]
	v_add3_u32 v13, v9, v13, v0
	v_mov_b32_e32 v87, v15
	v_mov_b32_e32 v15, v65
	ds_read_b64 v[8:9], v8
	ds_read_b64 v[62:63], v24
	s_waitcnt lgkmcnt(0)
	s_barrier
	v_mov_b32_e32 v86, v64
	ds_write_b64 v13, v[14:15] offset:1536
	v_pk_add_f32 v[14:15], v[84:85], v[66:67]
	ds_write2_b64 v13, v[56:57], v[86:87] offset1:96
	v_pk_fma_f32 v[14:15], v[14:15], 0.5, v[6:7] op_sel_hi:[1,0,1] neg_lo:[1,0,0] neg_hi:[1,0,0]
	v_pk_mul_f32 v[52:53], v[52:53], s[2:3] op_sel_hi:[1,0]
	v_mov_b32_e32 v13, 3
	s_movk_i32 s3, 0x900
	v_pk_add_f32 v[6:7], v[6:7], v[84:85]
	v_pk_add_f32 v[54:55], v[14:15], v[52:53] op_sel:[0,1] op_sel_hi:[1,0]
	v_pk_add_f32 v[14:15], v[14:15], v[52:53] op_sel:[0,1] op_sel_hi:[1,0] neg_lo:[0,1] neg_hi:[0,1]
	v_lshlrev_b32_sdwa v13, v13, v97 dst_sel:DWORD dst_unused:UNUSED_PAD src0_sel:DWORD src1_sel:BYTE_0
	v_mad_u32_u24 v16, v96, s3, 0
	v_pk_add_f32 v[6:7], v[6:7], v[66:67]
	v_add3_u32 v13, v16, v13, v0
	v_mov_b32_e32 v52, v54
	v_mov_b32_e32 v53, v15
	v_mov_b32_e32 v15, v55
	v_mov_b32_e32 v71, v17
	ds_write2_b64 v13, v[6:7], v[52:53] offset1:96
	ds_write_b64 v13, v[14:15] offset:1536
	v_pk_add_f32 v[6:7], v[82:83], v[70:71]
	v_pk_add_f32 v[16:17], v[82:83], v[70:71] neg_lo:[0,1] neg_hi:[0,1]
	v_perm_b32 v13, v41, v47, s10
	v_pk_fma_f32 v[6:7], v[6:7], 0.5, v[62:63] op_sel_hi:[1,0,1] neg_lo:[1,0,0] neg_hi:[1,0,0]
	v_pk_mul_f32 v[16:17], v[16:17], s[2:3] op_sel_hi:[1,0]
	v_pk_mul_lo_u16 v13, v13, s3 op_sel_hi:[1,0]
	v_pk_add_f32 v[50:51], v[6:7], v[16:17] op_sel:[0,1] op_sel_hi:[1,0]
	v_pk_add_f32 v[6:7], v[6:7], v[16:17] op_sel:[0,1] op_sel_hi:[1,0] neg_lo:[0,1] neg_hi:[0,1]
	v_and_b32_e32 v16, 0xff00, v13
	v_pk_add_f32 v[14:15], v[62:63], v[82:83]
	v_add_u32_e32 v16, 0, v16
	v_lshlrev_b32_e32 v17, 3, v49
	v_pk_add_f32 v[14:15], v[14:15], v[70:71]
	v_add3_u32 v18, v16, v17, v0
	v_mov_b32_e32 v16, v50
	v_mov_b32_e32 v17, v7
	;; [unrolled: 1-line block ×5, first 2 shown]
	ds_write2_b64 v18, v[14:15], v[16:17] offset1:96
	ds_write_b64 v18, v[6:7] offset:1536
	v_pk_add_f32 v[6:7], v[76:77], v[80:81]
	v_pk_add_f32 v[14:15], v[76:77], v[80:81] neg_lo:[0,1] neg_hi:[0,1]
	v_pk_fma_f32 v[6:7], v[6:7], 0.5, v[10:11] op_sel_hi:[1,0,1] neg_lo:[1,0,0] neg_hi:[1,0,0]
	v_pk_mul_f32 v[14:15], v[14:15], s[2:3] op_sel_hi:[1,0]
	v_pk_add_f32 v[10:11], v[10:11], v[76:77]
	v_pk_add_f32 v[16:17], v[6:7], v[14:15] op_sel:[0,1] op_sel_hi:[1,0]
	v_pk_add_f32 v[6:7], v[6:7], v[14:15] op_sel:[0,1] op_sel_hi:[1,0] neg_lo:[0,1] neg_hi:[0,1]
	v_add_u32_sdwa v13, v23, v13 dst_sel:DWORD dst_unused:UNUSED_PAD src0_sel:DWORD src1_sel:WORD_1
	v_lshlrev_b32_e32 v14, 3, v45
	v_pk_add_f32 v[10:11], v[10:11], v[80:81]
	v_add3_u32 v20, v13, v14, v0
	v_mov_b32_e32 v14, v16
	v_mov_b32_e32 v15, v7
	ds_write2_b64 v20, v[10:11], v[14:15] offset1:96
	v_pk_add_f32 v[10:11], v[74:75], v[68:69]
	v_mov_b32_e32 v7, v17
	v_pk_fma_f32 v[10:11], v[10:11], 0.5, v[8:9] op_sel_hi:[1,0,1] neg_lo:[1,0,0] neg_hi:[1,0,0]
	v_pk_add_f32 v[14:15], v[74:75], v[68:69] neg_lo:[0,1] neg_hi:[0,1]
	ds_write_b64 v20, v[6:7] offset:1536
	v_pk_add_f32 v[6:7], v[8:9], v[74:75]
	v_perm_b32 v8, v98, v25, s10
	v_pk_mul_f32 v[14:15], v[14:15], s[2:3] op_sel_hi:[1,0]
	v_pk_mul_lo_u16 v8, v8, s3 op_sel_hi:[1,0]
	v_pk_add_f32 v[18:19], v[10:11], v[14:15] op_sel:[0,1] op_sel_hi:[1,0] neg_lo:[0,1] neg_hi:[0,1]
	v_pk_add_f32 v[10:11], v[10:11], v[14:15] op_sel:[0,1] op_sel_hi:[1,0]
	v_and_b32_e32 v9, 0xff00, v8
	v_mov_b32_e32 v51, v11
	v_add_u32_e32 v9, 0, v9
	v_lshlrev_b32_e32 v11, 3, v39
	v_pk_add_f32 v[6:7], v[6:7], v[68:69]
	v_add3_u32 v9, v9, v11, v0
	v_mov_b32_e32 v11, v19
	v_mov_b32_e32 v13, v91
	;; [unrolled: 1-line block ×4, first 2 shown]
	ds_write2_b64 v9, v[6:7], v[10:11] offset1:96
	ds_write_b64 v9, v[50:51] offset:1536
	v_add_u32_sdwa v6, v23, v8 dst_sel:DWORD dst_unused:UNUSED_PAD src0_sel:DWORD src1_sel:WORD_1
	v_lshlrev_b32_e32 v7, 3, v43
	v_add3_u32 v0, v6, v7, v0
	v_pk_add_f32 v[6:7], v[12:13], v[60:61]
	v_pk_add_f32 v[8:9], v[12:13], v[60:61] neg_lo:[0,1] neg_hi:[0,1]
	v_pk_fma_f32 v[6:7], v[6:7], 0.5, v[58:59] op_sel_hi:[1,0,1] neg_lo:[1,0,0] neg_hi:[1,0,0]
	v_pk_mul_f32 v[8:9], v[8:9], s[2:3] op_sel_hi:[1,0]
	v_pk_add_f32 v[14:15], v[58:59], v[12:13]
	v_pk_add_f32 v[54:55], v[6:7], v[8:9] op_sel:[0,1] op_sel_hi:[1,0]
	v_pk_add_f32 v[56:57], v[6:7], v[8:9] op_sel:[0,1] op_sel_hi:[1,0] neg_lo:[0,1] neg_hi:[0,1]
	v_pk_add_f32 v[52:53], v[14:15], v[60:61]
	v_mov_b32_e32 v58, v54
	v_mov_b32_e32 v59, v57
	;; [unrolled: 1-line block ×3, first 2 shown]
	ds_write2_b64 v0, v[52:53], v[58:59] offset1:96
	ds_write_b64 v0, v[54:55] offset:1536
	v_add_u32_e32 v0, 0x2000, v35
	s_waitcnt lgkmcnt(0)
	s_barrier
	ds_read2_b64 v[20:23], v3 offset0:32 offset1:144
	ds_read2_b64 v[8:11], v2 offset0:64 offset1:176
	;; [unrolled: 1-line block ×4, first 2 shown]
	ds_read_b64 v[74:75], v37
	ds_read_b64 v[72:73], v79
	ds_read2_b64 v[16:19], v5 offset0:32 offset1:144
	ds_read2_b64 v[4:7], v4 offset0:64 offset1:176
	v_cmp_gt_u32_e32 vcc, 64, v30
	v_cmp_lt_u32_e64 s[2:3], 63, v30
                                        ; implicit-def: $vgpr64_vgpr65
                                        ; implicit-def: $vgpr62_vgpr63
                                        ; implicit-def: $vgpr60_vgpr61
	s_and_saveexec_b64 s[10:11], s[2:3]
	s_xor_b64 s[2:3], exec, s[10:11]
; %bb.14:
	v_mov_b32_e32 v60, v57
	v_mov_b64_e32 v[64:65], v[54:55]
	v_mov_b64_e32 v[62:63], v[58:59]
                                        ; implicit-def: $vgpr24
; %bb.15:
	s_or_saveexec_b64 s[2:3], s[2:3]
                                        ; implicit-def: $vgpr66
                                        ; implicit-def: $vgpr69
                                        ; implicit-def: $vgpr70
	s_xor_b64 exec, exec, s[2:3]
	s_cbranch_execz .LBB0_17
; %bb.16:
	ds_read_b64 v[52:53], v35 offset:4096
	ds_read_b64 v[56:57], v35 offset:6400
	ds_read_b64 v[54:55], v35 offset:8704
	ds_read_b64 v[66:67], v35 offset:11008
	ds_read_b64 v[68:69], v35 offset:13312
	ds_read_b64 v[50:51], v24
	ds_read_b64 v[70:71], v35 offset:15616
	s_waitcnt lgkmcnt(5)
	v_mov_b32_e32 v60, v57
	v_mov_b32_e32 v62, v56
	s_waitcnt lgkmcnt(3)
	v_mov_b32_e32 v63, v67
	s_waitcnt lgkmcnt(2)
	v_mov_b32_e32 v64, v68
	v_mov_b32_e32 v65, v55
	;; [unrolled: 1-line block ×6, first 2 shown]
.LBB0_17:
	s_or_b64 exec, exec, s[2:3]
	v_mul_i32_i24_e32 v76, 6, v34
	v_mov_b32_e32 v77, 0
	v_lshl_add_u64 v[24:25], v[76:77], 3, s[8:9]
	global_load_dwordx4 v[80:83], v[24:25], off offset:2288
	global_load_dwordx4 v[84:87], v[24:25], off offset:2304
	;; [unrolled: 1-line block ×3, first 2 shown]
	v_mul_u32_u24_e32 v24, 6, v30
	v_lshlrev_b32_e32 v39, 3, v24
	global_load_dwordx4 v[24:27], v39, s[8:9] offset:2288
	global_load_dwordx4 v[92:95], v39, s[8:9] offset:2304
	;; [unrolled: 1-line block ×3, first 2 shown]
	s_waitcnt lgkmcnt(7)
	v_mov_b32_e32 v68, v23
	s_waitcnt lgkmcnt(4)
	v_mov_b32_e32 v101, v2
	v_mov_b32_e32 v100, v11
	;; [unrolled: 1-line block ×3, first 2 shown]
	s_waitcnt lgkmcnt(1)
	v_mov_b32_e32 v102, v19
	v_mov_b32_e32 v104, v16
	;; [unrolled: 1-line block ×10, first 2 shown]
	s_mov_b32 s10, 0x3eae86e6
	s_mov_b32 s18, 0x3d64c772
	;; [unrolled: 1-line block ×12, first 2 shown]
	s_waitcnt lgkmcnt(0)
	s_barrier
	s_waitcnt vmcnt(5)
	v_pk_mul_f32 v[112:113], v[82:83], v[10:11]
	v_pk_mul_f32 v[116:117], v[80:81], v[22:23] op_sel_hi:[1,0]
	s_waitcnt vmcnt(3)
	v_pk_mul_f32 v[120:121], v[6:7], v[90:91] op_sel_hi:[1,0]
	v_mov_b32_e32 v90, v91
	v_mov_b32_e32 v112, v91
	v_mul_f32_e32 v91, v2, v87
	v_pk_mul_f32 v[124:125], v[18:19], v[88:89]
	v_pk_fma_f32 v[128:129], v[80:81], v[68:69], v[116:117] op_sel:[0,0,1] op_sel_hi:[1,1,0]
	v_pk_fma_f32 v[22:23], v[80:81], v[22:23], v[116:117] op_sel:[0,1,1] op_sel_hi:[1,1,0] neg_lo:[1,0,0] neg_hi:[1,0,0]
	v_mov_b32_e32 v2, v113
	v_pk_fma_f32 v[80:81], v[6:7], v[90:91], v[120:121] op_sel:[0,0,1] op_sel_hi:[1,1,0]
	v_pk_fma_f32 v[6:7], v[6:7], v[112:113], v[120:121] op_sel:[0,0,1] op_sel_hi:[1,0,0] neg_lo:[1,0,0] neg_hi:[1,0,0]
	v_mul_f32_e32 v115, v3, v86
	v_mov_b32_e32 v119, v86
	v_mov_b32_e32 v86, v83
	;; [unrolled: 1-line block ×3, first 2 shown]
	v_pk_fma_f32 v[112:113], v[82:83], v[10:11], v[2:3] neg_lo:[0,0,1] neg_hi:[0,0,1]
	v_mov_b32_e32 v11, v3
	v_mov_b32_e32 v118, v82
	v_mul_f32_e32 v14, v14, v85
	v_mov_b32_e32 v81, v7
	v_mov_b32_e32 v90, v7
	v_pk_fma_f32 v[2:3], v[18:19], v[88:89], v[6:7] neg_lo:[0,0,1] neg_hi:[0,0,1]
	v_pk_mul_f32 v[6:7], v[86:87], v[10:11]
	v_mul_f32_e32 v113, v15, v84
	v_mov_b32_e32 v3, v14
	v_pk_fma_f32 v[82:83], v[82:83], v[100:101], v[6:7]
	v_pk_fma_f32 v[6:7], v[118:119], v[100:101], v[6:7] neg_lo:[0,0,1] neg_hi:[0,0,1]
	v_mov_b32_e32 v127, v84
	v_mov_b32_e32 v129, v23
	;; [unrolled: 1-line block ×5, first 2 shown]
	v_pk_add_f32 v[2:3], v[112:113], v[2:3]
	s_waitcnt vmcnt(2)
	v_mul_f32_e32 v6, v27, v9
	s_waitcnt vmcnt(1)
	v_mul_f32_e32 v9, v92, v13
	v_mov_b32_e32 v113, v95
	v_mul_f32_e32 v95, v95, v0
	s_waitcnt vmcnt(0)
	v_mul_f32_e32 v0, v97, v17
	v_mov_b32_e32 v17, v92
	v_mov_b32_e32 v92, v97
	;; [unrolled: 1-line block ×4, first 2 shown]
	v_pk_add_f32 v[10:11], v[128:129], v[80:81]
	v_pk_add_f32 v[22:23], v[128:129], v[80:81] neg_lo:[0,1] neg_hi:[0,1]
	v_mov_b32_e32 v81, v112
	v_pk_mul_f32 v[18:19], v[18:19], v[84:85]
	v_mul_f32_e32 v13, v93, v12
	v_mov_b32_e32 v112, v27
	v_fma_f32 v12, v96, v16, -v0
	v_mov_b32_e32 v16, v96
	v_pk_mul_f32 v[92:93], v[92:93], v[104:105]
	v_pk_mul_f32 v[122:123], v[24:25], v[20:21] op_sel_hi:[1,0]
	v_pk_fma_f32 v[88:89], v[102:103], v[88:89], v[18:19]
	v_pk_fma_f32 v[18:19], v[102:103], v[126:127], v[18:19] neg_lo:[0,0,1] neg_hi:[0,0,1]
	v_mov_b32_e32 v102, v26
	v_mov_b32_e32 v103, v94
	v_pk_mul_f32 v[110:111], v[112:113], v[110:111]
	v_mul_f32_e32 v1, v94, v1
	v_pk_fma_f32 v[96:97], v[96:97], v[106:107], v[92:93]
	v_pk_fma_f32 v[16:17], v[16:17], v[106:107], v[92:93] neg_lo:[0,0,1] neg_hi:[0,0,1]
	v_mov_b32_e32 v0, v5
	v_pk_mul_f32 v[92:93], v[98:99], v[4:5] op_sel_hi:[1,0]
	v_pk_fma_f32 v[20:21], v[24:25], v[20:21], v[122:123] op_sel:[0,1,1] op_sel_hi:[1,1,0] neg_lo:[1,0,0] neg_hi:[1,0,0]
	v_pk_fma_f32 v[24:25], v[24:25], v[76:77], v[122:123] op_sel:[0,0,1] op_sel_hi:[1,1,0]
	v_fma_f32 v8, v26, v8, -v6
	v_pk_fma_f32 v[26:27], v[26:27], v[108:109], v[110:111]
	v_pk_fma_f32 v[102:103], v[102:103], v[108:109], v[110:111] neg_lo:[0,0,1] neg_hi:[0,0,1]
	v_pk_fma_f32 v[104:105], v[98:99], v[0:1], v[92:93] op_sel:[0,0,1] op_sel_hi:[1,1,0]
	v_pk_fma_f32 v[4:5], v[98:99], v[4:5], v[92:93] op_sel:[0,1,1] op_sel_hi:[1,1,0] neg_lo:[1,0,0] neg_hi:[1,0,0]
	v_mov_b32_e32 v25, v21
	v_mov_b32_e32 v27, v103
	;; [unrolled: 1-line block ×6, first 2 shown]
	v_pk_add_f32 v[92:93], v[24:25], v[104:105]
	v_pk_add_f32 v[98:99], v[26:27], v[96:97]
	;; [unrolled: 1-line block ×4, first 2 shown]
	v_mov_b32_e32 v20, v1
	v_mov_b32_e32 v21, v8
	;; [unrolled: 1-line block ×8, first 2 shown]
	v_pk_add_f32 v[24:25], v[24:25], v[104:105] neg_lo:[0,1] neg_hi:[0,1]
	v_pk_add_f32 v[26:27], v[26:27], v[96:97] neg_lo:[0,1] neg_hi:[0,1]
	;; [unrolled: 1-line block ×3, first 2 shown]
	v_pk_add_f32 v[104:105], v[4:5], v[0:1]
	v_pk_add_f32 v[16:17], v[16:17], v[102:103]
	v_mov_b32_e32 v12, v24
	v_mov_b32_e32 v13, v27
	;; [unrolled: 1-line block ×9, first 2 shown]
	v_pk_add_f32 v[12:13], v[12:13], v[8:9] neg_lo:[0,1] neg_hi:[0,1]
	v_pk_add_f32 v[94:95], v[94:95], v[26:27] neg_lo:[0,1] neg_hi:[0,1]
	;; [unrolled: 1-line block ×4, first 2 shown]
	v_pk_mul_f32 v[20:21], v[12:13], s[10:11]
	v_pk_mul_f32 v[94:95], v[94:95], s[12:13]
	v_pk_add_f32 v[96:97], v[26:27], v[8:9]
	v_pk_add_f32 v[16:17], v[104:105], v[16:17]
	v_pk_mul_f32 v[102:103], v[102:103], s[18:19]
	v_pk_mul_f32 v[104:105], v[106:107], s[20:21]
	v_mov_b32_e32 v27, v9
	v_mov_b32_e32 v5, v98
	;; [unrolled: 1-line block ×3, first 2 shown]
	v_pk_add_f32 v[96:97], v[96:97], v[24:25]
	v_pk_add_f32 v[74:75], v[74:75], v[16:17]
	v_pk_add_f32 v[8:9], v[26:27], v[24:25] neg_lo:[0,1] neg_hi:[0,1]
	v_pk_add_f32 v[0:1], v[4:5], v[0:1] neg_lo:[0,1] neg_hi:[0,1]
	v_mov_b32_e32 v4, v104
	v_mov_b32_e32 v5, v103
	;; [unrolled: 1-line block ×4, first 2 shown]
	v_pk_fma_f32 v[16:17], v[16:17], s[22:23], v[74:75] op_sel_hi:[1,0,1] neg_lo:[1,0,0] neg_hi:[1,0,0]
	v_pk_fma_f32 v[106:107], v[106:107], s[20:21], v[102:103]
	v_pk_fma_f32 v[12:13], v[12:13], s[10:11], v[94:95]
	v_pk_fma_f32 v[4:5], v[0:1], s[16:17], v[4:5] op_sel_hi:[1,0,1] neg_lo:[1,0,1] neg_hi:[1,0,1]
	v_pk_fma_f32 v[24:25], v[8:9], s[14:15], v[24:25] op_sel_hi:[1,0,1] neg_lo:[1,0,1] neg_hi:[1,0,1]
	v_mov_b32_e32 v103, v105
	v_mov_b32_e32 v95, v21
	v_pk_add_f32 v[14:15], v[114:115], v[90:91]
	v_pk_add_f32 v[4:5], v[4:5], v[16:17]
	v_pk_fma_f32 v[24:25], v[96:97], s[2:3], v[24:25] op_sel_hi:[1,0,1]
	v_pk_fma_f32 v[0:1], v[0:1], s[16:17], v[102:103] op_sel_hi:[1,0,1] neg_lo:[0,0,1] neg_hi:[0,0,1]
	v_pk_fma_f32 v[8:9], v[8:9], s[14:15], v[94:95] op_sel_hi:[1,0,1] neg_lo:[0,0,1] neg_hi:[0,0,1]
	v_mov_b32_e32 v80, v15
	v_mov_b32_e32 v83, v7
	;; [unrolled: 1-line block ×4, first 2 shown]
	v_pk_add_f32 v[26:27], v[4:5], v[24:25]
	v_pk_add_f32 v[4:5], v[4:5], v[24:25] neg_lo:[0,1] neg_hi:[0,1]
	v_pk_add_f32 v[0:1], v[0:1], v[16:17]
	v_pk_fma_f32 v[8:9], v[96:97], s[2:3], v[8:9] op_sel_hi:[1,0,1]
	v_pk_add_f32 v[80:81], v[80:81], v[86:87] neg_lo:[0,1] neg_hi:[0,1]
	v_pk_add_f32 v[86:87], v[82:83], v[88:89]
	v_pk_add_f32 v[106:107], v[106:107], v[16:17]
	v_mov_b32_e32 v25, v5
	v_pk_add_f32 v[16:17], v[0:1], v[8:9] neg_lo:[0,1] neg_hi:[0,1]
	v_pk_add_f32 v[0:1], v[0:1], v[8:9]
	v_mov_b32_e32 v5, v27
	v_mov_b32_e32 v9, v1
	;; [unrolled: 1-line block ×3, first 2 shown]
	ds_write_b64 v35, v[4:5] offset:11520
	v_mov_b32_e32 v4, v19
	v_mov_b32_e32 v5, v86
	;; [unrolled: 1-line block ×4, first 2 shown]
	ds_write_b64 v35, v[0:1] offset:9216
	v_pk_add_f32 v[0:1], v[2:3], v[14:15]
	v_pk_add_f32 v[4:5], v[4:5], v[6:7]
	v_mov_b32_e32 v91, v23
	v_pk_add_f32 v[82:83], v[82:83], v[88:89] neg_lo:[0,1] neg_hi:[0,1]
	v_mov_b32_e32 v90, v80
	v_pk_fma_f32 v[12:13], v[96:97], s[2:3], v[12:13] op_sel_hi:[1,0,1]
	v_mov_b32_e32 v8, v16
	v_mov_b32_e32 v6, v4
	;; [unrolled: 1-line block ×5, first 2 shown]
	v_pk_add_f32 v[88:89], v[90:91], v[82:83] neg_lo:[0,1] neg_hi:[0,1]
	v_pk_add_f32 v[108:109], v[106:107], v[12:13]
	v_pk_add_f32 v[12:13], v[106:107], v[12:13] neg_lo:[0,1] neg_hi:[0,1]
	ds_write_b64 v35, v[8:9] offset:6912
	v_pk_add_f32 v[6:7], v[6:7], v[2:3] neg_lo:[0,1] neg_hi:[0,1]
	v_mov_b32_e32 v15, v1
	v_mov_b32_e32 v8, v4
	;; [unrolled: 1-line block ×3, first 2 shown]
	v_pk_add_f32 v[0:1], v[0:1], v[4:5]
	v_pk_add_f32 v[90:91], v[82:83], v[80:81]
	v_pk_add_f32 v[84:85], v[84:85], v[80:81] neg_lo:[0,1] neg_hi:[0,1]
	v_pk_mul_f32 v[88:89], v[88:89], s[12:13]
	ds_write_b64 v35, v[74:75]
	v_mov_b32_e32 v75, v13
	v_mov_b32_e32 v13, v109
	v_pk_add_f32 v[8:9], v[14:15], v[8:9] neg_lo:[0,1] neg_hi:[0,1]
	v_pk_add_f32 v[4:5], v[72:73], v[0:1]
	v_pk_mul_f32 v[6:7], v[6:7], s[18:19]
	v_pk_add_f32 v[90:91], v[90:91], v[22:23]
	ds_write_b64 v35, v[12:13] offset:13824
	v_pk_mul_f32 v[12:13], v[8:9], s[20:21]
	v_pk_fma_f32 v[0:1], v[0:1], s[22:23], v[4:5] op_sel_hi:[1,0,1] neg_lo:[1,0,0] neg_hi:[1,0,0]
	v_pk_fma_f32 v[8:9], v[8:9], s[20:21], v[6:7]
	v_pk_fma_f32 v[16:17], v[84:85], s[10:11], v[88:89]
	v_pk_add_f32 v[8:9], v[8:9], v[0:1]
	v_pk_fma_f32 v[16:17], v[90:91], s[2:3], v[16:17] op_sel_hi:[1,0,1]
	v_mov_b32_e32 v74, v108
	v_mov_b32_e32 v24, v26
	v_pk_add_f32 v[18:19], v[8:9], v[16:17]
	v_pk_add_f32 v[8:9], v[8:9], v[16:17] neg_lo:[0,1] neg_hi:[0,1]
	v_pk_mul_f32 v[100:101], v[84:85], s[10:11]
	ds_write_b64 v35, v[74:75] offset:2304
	ds_write_b64 v35, v[24:25] offset:4608
	ds_write_b64 v79, v[4:5]
	v_mov_b32_e32 v4, v18
	v_mov_b32_e32 v5, v9
	v_mov_b32_e32 v83, v81
	v_mov_b32_e32 v3, v86
	v_mov_b32_e32 v15, v10
	ds_write_b64 v79, v[4:5] offset:2304
	v_pk_add_f32 v[4:5], v[82:83], v[22:23] neg_lo:[0,1] neg_hi:[0,1]
	v_pk_add_f32 v[2:3], v[2:3], v[14:15] neg_lo:[0,1] neg_hi:[0,1]
	v_mov_b32_e32 v10, v12
	v_mov_b32_e32 v11, v7
	;; [unrolled: 1-line block ×6, first 2 shown]
	v_pk_fma_f32 v[10:11], v[2:3], s[16:17], v[10:11] op_sel_hi:[1,0,1] neg_lo:[1,0,1] neg_hi:[1,0,1]
	v_pk_fma_f32 v[14:15], v[4:5], s[14:15], v[14:15] op_sel_hi:[1,0,1] neg_lo:[1,0,1] neg_hi:[1,0,1]
	v_pk_fma_f32 v[2:3], v[2:3], s[16:17], v[6:7] op_sel_hi:[1,0,1] neg_lo:[0,0,1] neg_hi:[0,0,1]
	v_pk_fma_f32 v[4:5], v[4:5], s[14:15], v[88:89] op_sel_hi:[1,0,1] neg_lo:[0,0,1] neg_hi:[0,0,1]
	v_pk_add_f32 v[10:11], v[10:11], v[0:1]
	v_pk_fma_f32 v[14:15], v[90:91], s[2:3], v[14:15] op_sel_hi:[1,0,1]
	v_pk_add_f32 v[0:1], v[2:3], v[0:1]
	v_pk_fma_f32 v[2:3], v[90:91], s[2:3], v[4:5] op_sel_hi:[1,0,1]
	v_pk_add_f32 v[16:17], v[10:11], v[14:15]
	v_pk_add_f32 v[10:11], v[10:11], v[14:15] neg_lo:[0,1] neg_hi:[0,1]
	v_pk_add_f32 v[4:5], v[0:1], v[2:3] neg_lo:[0,1] neg_hi:[0,1]
	v_pk_add_f32 v[0:1], v[0:1], v[2:3]
	v_mov_b32_e32 v14, v16
	v_mov_b32_e32 v15, v11
	;; [unrolled: 1-line block ×7, first 2 shown]
	ds_write_b64 v79, v[14:15] offset:4608
	ds_write_b64 v79, v[2:3] offset:6912
	;; [unrolled: 1-line block ×5, first 2 shown]
	s_and_saveexec_b64 s[22:23], vcc
	s_cbranch_execz .LBB0_19
; %bb.18:
	v_subrev_u32_e32 v0, 64, v30
	v_cndmask_b32_e32 v0, v0, v44, vcc
	v_mul_lo_u32 v76, v0, 6
	v_lshl_add_u64 v[12:13], v[76:77], 3, s[8:9]
	global_load_dwordx4 v[0:3], v[12:13], off offset:2288
	global_load_dwordx4 v[4:7], v[12:13], off offset:2320
	;; [unrolled: 1-line block ×3, first 2 shown]
	v_mov_b32_e32 v12, v69
	v_mov_b32_e32 v14, v69
	;; [unrolled: 1-line block ×6, first 2 shown]
	s_mov_b32 s24, 0xbf955555
	s_waitcnt vmcnt(2)
	v_mov_b32_e32 v26, v3
	s_waitcnt vmcnt(1)
	v_mov_b32_e32 v72, v5
	;; [unrolled: 2-line block ×3, first 2 shown]
	v_mov_b32_e32 v73, v9
	v_pk_mul_f32 v[20:21], v[52:53], v[0:1] op_sel_hi:[0,1]
	v_pk_mul_f32 v[22:23], v[70:71], v[6:7] op_sel_hi:[0,1]
	v_mov_b32_e32 v24, v2
	v_mov_b32_e32 v25, v10
	;; [unrolled: 1-line block ×4, first 2 shown]
	v_mul_f32_e32 v19, v57, v3
	v_mul_f32_e32 v39, v69, v5
	;; [unrolled: 1-line block ×3, first 2 shown]
	v_pk_mul_f32 v[26:27], v[62:63], v[26:27]
	v_pk_mul_f32 v[62:63], v[64:65], v[72:73]
	v_mul_f32_e32 v9, v56, v9
	v_mul_f32_e32 v57, v55, v8
	v_fma_f32 v56, v58, v2, -v19
	v_fma_f32 v8, v54, v4, -v39
	v_pk_fma_f32 v[54:55], v[18:19], v[6:7], v[22:23] op_sel:[0,0,1] op_sel_hi:[0,1,0]
	v_pk_fma_f32 v[6:7], v[18:19], v[6:7], v[22:23] op_sel:[0,0,1] op_sel_hi:[0,1,0] neg_lo:[1,0,0] neg_hi:[1,0,0]
	v_pk_fma_f32 v[18:19], v[52:53], v[0:1], v[20:21] op_sel:[1,0,1] op_sel_hi:[1,1,0]
	v_pk_fma_f32 v[0:1], v[52:53], v[0:1], v[20:21] op_sel:[1,0,1] op_sel_hi:[1,1,0] neg_lo:[1,0,0] neg_hi:[1,0,0]
	v_pk_fma_f32 v[4:5], v[12:13], v[4:5], v[62:63]
	v_pk_fma_f32 v[14:15], v[14:15], v[70:71], v[62:63] neg_lo:[0,0,1] neg_hi:[0,0,1]
	v_pk_fma_f32 v[2:3], v[60:61], v[2:3], v[26:27]
	v_pk_fma_f32 v[16:17], v[16:17], v[24:25], v[26:27] neg_lo:[0,0,1] neg_hi:[0,0,1]
	v_mul_f32_e32 v11, v66, v11
	v_mov_b32_e32 v55, v7
	v_mov_b32_e32 v19, v1
	;; [unrolled: 1-line block ×6, first 2 shown]
	v_pk_add_f32 v[20:21], v[56:57], v[8:9]
	v_mov_b32_e32 v7, v8
	v_pk_add_f32 v[8:9], v[18:19], v[54:55]
	v_pk_add_f32 v[10:11], v[12:13], v[10:11]
	v_mov_b32_e32 v14, v17
	v_pk_add_f32 v[16:17], v[2:3], v[4:5]
	v_mov_b32_e32 v1, v56
	v_mov_b32_e32 v6, v21
	;; [unrolled: 1-line block ×6, first 2 shown]
	v_pk_add_f32 v[18:19], v[18:19], v[54:55] neg_lo:[0,1] neg_hi:[0,1]
	v_pk_add_f32 v[24:25], v[20:21], v[10:11]
	v_pk_add_f32 v[0:1], v[0:1], v[6:7] neg_lo:[0,1] neg_hi:[0,1]
	v_pk_add_f32 v[12:13], v[12:13], v[14:15]
	v_pk_add_f32 v[2:3], v[2:3], v[4:5] neg_lo:[0,1] neg_hi:[0,1]
	v_mov_b32_e32 v5, v19
	v_mov_b32_e32 v11, v25
	;; [unrolled: 1-line block ×4, first 2 shown]
	v_pk_add_f32 v[24:25], v[24:25], v[12:13]
	v_mov_b32_e32 v13, v16
	v_mov_b32_e32 v22, v18
	;; [unrolled: 1-line block ×3, first 2 shown]
	v_pk_add_f32 v[4:5], v[4:5], v[2:3] neg_lo:[0,1] neg_hi:[0,1]
	v_pk_add_f32 v[26:27], v[10:11], v[12:13] neg_lo:[0,1] neg_hi:[0,1]
	v_mov_b32_e32 v13, v8
	v_pk_add_f32 v[6:7], v[2:3], v[0:1]
	v_pk_add_f32 v[22:23], v[22:23], v[0:1] neg_lo:[0,1] neg_hi:[0,1]
	v_mov_b32_e32 v3, v1
	v_pk_mul_f32 v[0:1], v[4:5], s[12:13]
	v_pk_add_f32 v[4:5], v[50:51], v[24:25]
	v_pk_add_f32 v[12:13], v[12:13], v[20:21] neg_lo:[0,1] neg_hi:[0,1]
	v_pk_add_f32 v[6:7], v[6:7], v[18:19]
	v_pk_mul_f32 v[14:15], v[22:23], s[10:11]
	v_pk_add_f32 v[2:3], v[2:3], v[18:19] neg_lo:[0,1] neg_hi:[0,1]
	v_pk_mul_f32 v[18:19], v[26:27], s[20:21]
	v_pk_fma_f32 v[24:25], v[24:25], s[24:25], v[4:5] op_sel_hi:[1,0,1]
	v_pk_fma_f32 v[22:23], v[22:23], s[10:11], v[0:1]
	ds_write_b64 v35, v[4:5] offset:1792
	v_pk_mul_f32 v[4:5], v[12:13], s[18:19]
	v_mov_b32_e32 v21, v16
	v_mov_b32_e32 v11, v8
	v_pk_fma_f32 v[12:13], v[6:7], s[2:3], v[22:23] op_sel_hi:[1,0,1]
	v_mov_b32_e32 v22, v18
	v_pk_fma_f32 v[26:27], v[26:27], s[20:21], v[4:5]
	v_mov_b32_e32 v23, v5
	v_pk_add_f32 v[8:9], v[20:21], v[10:11] neg_lo:[0,1] neg_hi:[0,1]
	v_mov_b32_e32 v16, v14
	v_mov_b32_e32 v17, v1
	;; [unrolled: 1-line block ×4, first 2 shown]
	v_pk_fma_f32 v[10:11], v[8:9], s[16:17], v[22:23] op_sel_hi:[1,0,1] neg_lo:[1,0,1] neg_hi:[1,0,1]
	v_pk_fma_f32 v[16:17], v[2:3], s[14:15], v[16:17] op_sel_hi:[1,0,1] neg_lo:[1,0,1] neg_hi:[1,0,1]
	;; [unrolled: 1-line block ×4, first 2 shown]
	v_pk_add_f32 v[26:27], v[26:27], v[24:25]
	v_pk_add_f32 v[10:11], v[10:11], v[24:25]
	v_pk_fma_f32 v[16:17], v[6:7], s[2:3], v[16:17] op_sel_hi:[1,0,1]
	v_pk_fma_f32 v[0:1], v[6:7], s[2:3], v[0:1] op_sel_hi:[1,0,1]
	v_pk_add_f32 v[2:3], v[2:3], v[24:25]
	v_pk_add_f32 v[50:51], v[26:27], v[12:13]
	v_pk_add_f32 v[12:13], v[26:27], v[12:13] neg_lo:[0,1] neg_hi:[0,1]
	v_pk_add_f32 v[20:21], v[10:11], v[16:17]
	v_pk_add_f32 v[10:11], v[10:11], v[16:17] neg_lo:[0,1] neg_hi:[0,1]
	v_pk_add_f32 v[4:5], v[2:3], v[0:1] neg_lo:[0,1] neg_hi:[0,1]
	v_pk_add_f32 v[0:1], v[2:3], v[0:1]
	v_mov_b32_e32 v26, v50
	v_mov_b32_e32 v27, v13
	;; [unrolled: 1-line block ×9, first 2 shown]
	ds_write_b64 v35, v[26:27] offset:4096
	ds_write_b64 v35, v[16:17] offset:6400
	ds_write_b64 v35, v[2:3] offset:8704
	ds_write_b64 v35, v[0:1] offset:11008
	ds_write_b64 v35, v[10:11] offset:13312
	ds_write_b64 v35, v[12:13] offset:15616
.LBB0_19:
	s_or_b64 exec, exec, s[22:23]
	s_waitcnt lgkmcnt(0)
	s_barrier
	ds_read_b64 v[4:5], v37
	s_add_u32 s2, s8, 0x3ef0
	s_addc_u32 s3, s9, 0
	v_sub_u32_e32 v6, v78, v31
	v_cmp_ne_u32_e32 vcc, 0, v30
                                        ; implicit-def: $vgpr1
                                        ; implicit-def: $vgpr2_vgpr3
	s_and_saveexec_b64 s[8:9], vcc
	s_xor_b64 s[8:9], exec, s[8:9]
	s_cbranch_execz .LBB0_21
; %bb.20:
	v_mov_b32_e32 v31, 0
	v_lshl_add_u64 v[0:1], v[30:31], 3, s[2:3]
	global_load_dwordx2 v[2:3], v[0:1], off
	ds_read_b64 v[0:1], v6 offset:16128
	v_mov_b32_e32 v9, 0.5
	v_mov_b32_e32 v10, v9
	s_waitcnt lgkmcnt(0)
	v_pk_add_f32 v[12:13], v[0:1], v[4:5]
	v_pk_add_f32 v[0:1], v[4:5], v[0:1] neg_lo:[0,1] neg_hi:[0,1]
	v_mov_b32_e32 v4, v13
	v_mov_b32_e32 v5, v0
	v_pk_mul_f32 v[4:5], v[4:5], 0.5 op_sel_hi:[1,0]
	s_waitcnt vmcnt(0)
	v_mov_b32_e32 v8, v3
	v_mov_b32_e32 v0, v5
	;; [unrolled: 1-line block ×4, first 2 shown]
	v_pk_mul_f32 v[0:1], v[8:9], v[0:1]
	v_pk_mul_f32 v[14:15], v[2:3], v[4:5] op_sel_hi:[0,1]
	v_pk_fma_f32 v[8:9], v[12:13], v[10:11], v[0:1]
	v_pk_fma_f32 v[10:11], v[12:13], v[10:11], v[0:1] neg_lo:[0,0,1] neg_hi:[0,0,1]
	v_pk_fma_f32 v[0:1], v[2:3], v[4:5], v[8:9] op_sel_hi:[0,1,1] neg_lo:[1,0,0] neg_hi:[1,0,0]
	v_pk_fma_f32 v[2:3], v[2:3], v[4:5], v[10:11] op_sel_hi:[0,1,1] neg_lo:[1,0,0] neg_hi:[1,0,0]
	v_add_f32_e32 v0, v8, v14
                                        ; implicit-def: $vgpr4_vgpr5
.LBB0_21:
	s_andn2_saveexec_b64 s[8:9], s[8:9]
	s_cbranch_execz .LBB0_23
; %bb.22:
	ds_read_b32 v1, v78 offset:8068
	s_waitcnt lgkmcnt(1)
	v_mov_b32_e32 v2, v5
	v_pk_add_f32 v[2:3], v[4:5], v[2:3] neg_lo:[0,1] neg_hi:[0,1]
	v_add_f32_e32 v0, v5, v4
	v_mov_b32_e32 v3, 0
	s_waitcnt lgkmcnt(0)
	v_xor_b32_e32 v1, 0x80000000, v1
	ds_write_b32 v78, v1 offset:8068
	v_mov_b32_e32 v1, v3
.LBB0_23:
	s_or_b64 exec, exec, s[8:9]
	v_mov_b32_e32 v35, 0
	s_waitcnt lgkmcnt(0)
	v_lshl_add_u64 v[4:5], v[34:35], 3, s[2:3]
	global_load_dwordx2 v[4:5], v[4:5], off
	v_mov_b32_e32 v45, v35
	v_lshl_add_u64 v[8:9], v[44:45], 3, s[2:3]
	global_load_dwordx2 v[8:9], v[8:9], off
	v_mov_b32_e32 v49, v35
	;; [unrolled: 3-line block ×3, first 2 shown]
	ds_write_b64 v37, v[0:1]
	ds_write_b64 v6, v[2:3] offset:16128
	v_lshl_add_u64 v[2:3], v[42:43], 3, s[2:3]
	global_load_dwordx2 v[2:3], v[2:3], off
	ds_read_b64 v[12:13], v79
	ds_read_b64 v[14:15], v6 offset:15232
	v_mov_b32_e32 v1, 0.5
	v_mov_b32_e32 v16, v1
	v_mov_b32_e32 v47, v35
	v_lshl_add_u64 v[24:25], v[46:47], 3, s[2:3]
	s_waitcnt lgkmcnt(0)
	v_pk_add_f32 v[26:27], v[12:13], v[14:15]
	v_pk_add_f32 v[12:13], v[12:13], v[14:15] neg_lo:[0,1] neg_hi:[0,1]
	v_mov_b32_e32 v14, v27
	v_mov_b32_e32 v15, v12
	v_pk_mul_f32 v[14:15], v[14:15], 0.5 op_sel_hi:[1,0]
	v_lshl_add_u32 v7, v44, 3, v78
	v_mov_b32_e32 v27, v14
	v_mov_b32_e32 v12, v15
	global_load_dwordx2 v[24:25], v[24:25], off
	v_mov_b32_e32 v18, v1
	v_mov_b32_e32 v41, v35
	v_lshl_add_u32 v23, v48, 3, v78
	v_mov_b32_e32 v20, v1
	v_mov_b32_e32 v39, v35
	v_lshl_add_u32 v31, v42, 3, v78
	;; [unrolled: 3-line block ×3, first 2 shown]
	v_lshl_add_u32 v42, v40, 3, v78
	s_waitcnt vmcnt(4)
	v_mov_b32_e32 v17, v5
	v_mov_b32_e32 v0, v5
	v_pk_mul_f32 v[16:17], v[26:27], v[16:17]
	s_waitcnt vmcnt(3)
	v_mov_b32_e32 v19, v9
	v_pk_fma_f32 v[26:27], v[0:1], v[12:13], v[16:17] neg_lo:[1,0,0] neg_hi:[1,0,0]
	v_pk_fma_f32 v[12:13], v[0:1], v[12:13], v[16:17]
	v_pk_fma_f32 v[16:17], v[4:5], v[14:15], v[26:27] op_sel_hi:[0,1,1] neg_lo:[1,0,0] neg_hi:[1,0,0]
	v_pk_fma_f32 v[26:27], v[4:5], v[14:15], v[12:13] op_sel_hi:[0,1,1]
	v_pk_fma_f32 v[4:5], v[4:5], v[14:15], v[12:13] op_sel_hi:[0,1,1] neg_lo:[1,0,0] neg_hi:[1,0,0]
	v_mov_b32_e32 v27, v5
	ds_write_b64 v79, v[26:27]
	ds_write_b64 v6, v[16:17] offset:15232
	ds_read_b64 v[4:5], v7
	ds_read_b64 v[12:13], v6 offset:14336
	v_mov_b32_e32 v0, v9
	v_lshl_add_u64 v[14:15], v[40:41], 3, s[2:3]
	global_load_dwordx2 v[14:15], v[14:15], off
	s_waitcnt vmcnt(3)
	v_mov_b32_e32 v21, v11
	s_waitcnt lgkmcnt(0)
	v_pk_add_f32 v[16:17], v[4:5], v[12:13]
	v_pk_add_f32 v[4:5], v[4:5], v[12:13] neg_lo:[0,1] neg_hi:[0,1]
	v_mov_b32_e32 v12, v17
	v_mov_b32_e32 v13, v4
	v_pk_mul_f32 v[12:13], v[12:13], 0.5 op_sel_hi:[1,0]
	s_nop 0
	v_mov_b32_e32 v17, v12
	v_mov_b32_e32 v4, v13
	v_pk_mul_f32 v[16:17], v[16:17], v[18:19]
	s_nop 0
	v_pk_fma_f32 v[18:19], v[0:1], v[4:5], v[16:17] neg_lo:[1,0,0] neg_hi:[1,0,0]
	v_pk_fma_f32 v[4:5], v[0:1], v[4:5], v[16:17]
	v_pk_fma_f32 v[16:17], v[8:9], v[12:13], v[18:19] op_sel_hi:[0,1,1] neg_lo:[1,0,0] neg_hi:[1,0,0]
	v_pk_fma_f32 v[18:19], v[8:9], v[12:13], v[4:5] op_sel_hi:[0,1,1]
	v_pk_fma_f32 v[4:5], v[8:9], v[12:13], v[4:5] op_sel_hi:[0,1,1] neg_lo:[1,0,0] neg_hi:[1,0,0]
	v_mov_b32_e32 v19, v5
	ds_write_b64 v7, v[18:19]
	ds_write_b64 v6, v[16:17] offset:14336
	ds_read_b64 v[4:5], v23
	ds_read_b64 v[8:9], v6 offset:13440
	v_mov_b32_e32 v0, v11
	v_lshl_add_u64 v[12:13], v[38:39], 3, s[2:3]
	global_load_dwordx2 v[12:13], v[12:13], off
	v_lshl_add_u32 v7, v38, 3, v78
	s_waitcnt lgkmcnt(0)
	v_pk_add_f32 v[16:17], v[4:5], v[8:9]
	v_pk_add_f32 v[4:5], v[4:5], v[8:9] neg_lo:[0,1] neg_hi:[0,1]
	v_mov_b32_e32 v8, v17
	v_mov_b32_e32 v9, v4
	v_pk_mul_f32 v[8:9], v[8:9], 0.5 op_sel_hi:[1,0]
	s_nop 0
	v_mov_b32_e32 v17, v8
	v_mov_b32_e32 v4, v9
	v_pk_mul_f32 v[16:17], v[16:17], v[20:21]
	s_nop 0
	v_pk_fma_f32 v[18:19], v[0:1], v[4:5], v[16:17] neg_lo:[1,0,0] neg_hi:[1,0,0]
	v_pk_fma_f32 v[4:5], v[0:1], v[4:5], v[16:17]
	v_pk_fma_f32 v[16:17], v[10:11], v[8:9], v[18:19] op_sel_hi:[0,1,1] neg_lo:[1,0,0] neg_hi:[1,0,0]
	v_pk_fma_f32 v[18:19], v[10:11], v[8:9], v[4:5] op_sel_hi:[0,1,1]
	v_pk_fma_f32 v[4:5], v[10:11], v[8:9], v[4:5] op_sel_hi:[0,1,1] neg_lo:[1,0,0] neg_hi:[1,0,0]
	v_mov_b32_e32 v19, v5
	ds_write_b64 v23, v[18:19]
	ds_write_b64 v6, v[16:17] offset:13440
	ds_read_b64 v[4:5], v31
	ds_read_b64 v[8:9], v6 offset:12544
	s_waitcnt vmcnt(3)
	v_mov_b32_e32 v23, v3
	v_mov_b32_e32 v0, v3
	v_lshl_add_u64 v[10:11], v[36:37], 3, s[2:3]
	s_waitcnt lgkmcnt(0)
	v_pk_add_f32 v[16:17], v[4:5], v[8:9]
	v_pk_add_f32 v[4:5], v[4:5], v[8:9] neg_lo:[0,1] neg_hi:[0,1]
	v_mov_b32_e32 v8, v17
	v_mov_b32_e32 v9, v4
	v_pk_mul_f32 v[8:9], v[8:9], 0.5 op_sel_hi:[1,0]
	s_nop 0
	v_mov_b32_e32 v17, v8
	v_mov_b32_e32 v4, v9
	v_pk_mul_f32 v[16:17], v[16:17], v[22:23]
	s_nop 0
	v_pk_fma_f32 v[18:19], v[0:1], v[4:5], v[16:17] neg_lo:[1,0,0] neg_hi:[1,0,0]
	v_pk_fma_f32 v[4:5], v[0:1], v[4:5], v[16:17]
	v_pk_fma_f32 v[16:17], v[2:3], v[8:9], v[18:19] op_sel_hi:[0,1,1] neg_lo:[1,0,0] neg_hi:[1,0,0]
	v_pk_fma_f32 v[18:19], v[2:3], v[8:9], v[4:5] op_sel_hi:[0,1,1]
	v_pk_fma_f32 v[2:3], v[2:3], v[8:9], v[4:5] op_sel_hi:[0,1,1] neg_lo:[1,0,0] neg_hi:[1,0,0]
	v_mov_b32_e32 v19, v3
	ds_write_b64 v31, v[18:19]
	ds_write_b64 v6, v[16:17] offset:12544
	ds_read_b64 v[2:3], v34
	ds_read_b64 v[4:5], v6 offset:11648
	global_load_dwordx2 v[8:9], v[10:11], off
	v_mov_b32_e32 v10, v1
	s_waitcnt vmcnt(3)
	v_mov_b32_e32 v11, v25
	v_mov_b32_e32 v0, v25
	s_waitcnt lgkmcnt(0)
	v_pk_add_f32 v[16:17], v[2:3], v[4:5]
	v_pk_add_f32 v[2:3], v[2:3], v[4:5] neg_lo:[0,1] neg_hi:[0,1]
	v_mov_b32_e32 v4, v17
	v_mov_b32_e32 v5, v2
	v_pk_mul_f32 v[4:5], v[4:5], 0.5 op_sel_hi:[1,0]
	s_nop 0
	v_mov_b32_e32 v17, v4
	v_mov_b32_e32 v2, v5
	v_pk_mul_f32 v[10:11], v[16:17], v[10:11]
	s_nop 0
	v_pk_fma_f32 v[16:17], v[0:1], v[2:3], v[10:11] neg_lo:[1,0,0] neg_hi:[1,0,0]
	v_pk_fma_f32 v[2:3], v[0:1], v[2:3], v[10:11]
	v_pk_fma_f32 v[10:11], v[24:25], v[4:5], v[16:17] op_sel_hi:[0,1,1] neg_lo:[1,0,0] neg_hi:[1,0,0]
	v_pk_fma_f32 v[16:17], v[24:25], v[4:5], v[2:3] op_sel_hi:[0,1,1]
	v_pk_fma_f32 v[2:3], v[24:25], v[4:5], v[2:3] op_sel_hi:[0,1,1] neg_lo:[1,0,0] neg_hi:[1,0,0]
	v_mov_b32_e32 v17, v3
	ds_write_b64 v34, v[16:17]
	ds_write_b64 v6, v[10:11] offset:11648
	ds_read_b64 v[2:3], v42
	ds_read_b64 v[4:5], v6 offset:10752
	v_mov_b32_e32 v10, v1
	s_waitcnt vmcnt(2)
	v_mov_b32_e32 v11, v15
	v_mov_b32_e32 v0, v15
	s_waitcnt lgkmcnt(0)
	v_pk_add_f32 v[16:17], v[2:3], v[4:5]
	v_pk_add_f32 v[2:3], v[2:3], v[4:5] neg_lo:[0,1] neg_hi:[0,1]
	v_mov_b32_e32 v4, v17
	v_mov_b32_e32 v5, v2
	v_pk_mul_f32 v[4:5], v[4:5], 0.5 op_sel_hi:[1,0]
	s_nop 0
	v_mov_b32_e32 v17, v4
	v_mov_b32_e32 v2, v5
	v_pk_mul_f32 v[10:11], v[16:17], v[10:11]
	s_nop 0
	v_pk_fma_f32 v[16:17], v[0:1], v[2:3], v[10:11] neg_lo:[1,0,0] neg_hi:[1,0,0]
	v_pk_fma_f32 v[2:3], v[0:1], v[2:3], v[10:11]
	v_pk_fma_f32 v[10:11], v[14:15], v[4:5], v[16:17] op_sel_hi:[0,1,1] neg_lo:[1,0,0] neg_hi:[1,0,0]
	v_pk_fma_f32 v[16:17], v[14:15], v[4:5], v[2:3] op_sel_hi:[0,1,1]
	v_pk_fma_f32 v[2:3], v[14:15], v[4:5], v[2:3] op_sel_hi:[0,1,1] neg_lo:[1,0,0] neg_hi:[1,0,0]
	v_mov_b32_e32 v17, v3
	ds_write_b64 v42, v[16:17]
	ds_write_b64 v6, v[10:11] offset:10752
	ds_read_b64 v[2:3], v7
	ds_read_b64 v[4:5], v6 offset:9856
	v_mov_b32_e32 v14, v1
	s_waitcnt vmcnt(1)
	v_mov_b32_e32 v15, v13
	v_mov_b32_e32 v0, v13
	s_waitcnt lgkmcnt(0)
	v_pk_add_f32 v[10:11], v[2:3], v[4:5]
	v_pk_add_f32 v[2:3], v[2:3], v[4:5] neg_lo:[0,1] neg_hi:[0,1]
	v_mov_b32_e32 v4, v11
	v_mov_b32_e32 v5, v2
	v_pk_mul_f32 v[4:5], v[4:5], 0.5 op_sel_hi:[1,0]
	s_nop 0
	v_mov_b32_e32 v11, v4
	v_mov_b32_e32 v2, v5
	v_pk_mul_f32 v[10:11], v[10:11], v[14:15]
	s_nop 0
	v_pk_fma_f32 v[14:15], v[0:1], v[2:3], v[10:11] neg_lo:[1,0,0] neg_hi:[1,0,0]
	v_pk_fma_f32 v[2:3], v[0:1], v[2:3], v[10:11]
	v_pk_fma_f32 v[14:15], v[12:13], v[4:5], v[14:15] op_sel_hi:[0,1,1] neg_lo:[1,0,0] neg_hi:[1,0,0]
	v_pk_fma_f32 v[10:11], v[12:13], v[4:5], v[2:3] op_sel_hi:[0,1,1]
	v_pk_fma_f32 v[2:3], v[12:13], v[4:5], v[2:3] op_sel_hi:[0,1,1] neg_lo:[1,0,0] neg_hi:[1,0,0]
	v_mov_b32_e32 v11, v3
	ds_write_b64 v7, v[10:11]
	ds_write_b64 v6, v[14:15] offset:9856
	v_lshl_add_u32 v7, v36, 3, v78
	ds_read_b64 v[2:3], v7
	ds_read_b64 v[4:5], v6 offset:8960
	v_mov_b32_e32 v12, v1
	s_waitcnt lgkmcnt(0)
	v_pk_add_f32 v[10:11], v[2:3], v[4:5]
	v_pk_add_f32 v[2:3], v[2:3], v[4:5] neg_lo:[0,1] neg_hi:[0,1]
	v_mov_b32_e32 v4, v11
	v_mov_b32_e32 v5, v2
	v_pk_mul_f32 v[4:5], v[4:5], 0.5 op_sel_hi:[1,0]
	s_waitcnt vmcnt(0)
	v_mov_b32_e32 v13, v9
	v_mov_b32_e32 v11, v4
	;; [unrolled: 1-line block ×4, first 2 shown]
	v_pk_mul_f32 v[10:11], v[10:11], v[12:13]
	s_nop 0
	v_pk_fma_f32 v[12:13], v[0:1], v[2:3], v[10:11] neg_lo:[1,0,0] neg_hi:[1,0,0]
	v_pk_fma_f32 v[0:1], v[0:1], v[2:3], v[10:11]
	v_pk_fma_f32 v[12:13], v[8:9], v[4:5], v[12:13] op_sel_hi:[0,1,1] neg_lo:[1,0,0] neg_hi:[1,0,0]
	v_pk_fma_f32 v[2:3], v[8:9], v[4:5], v[0:1] op_sel_hi:[0,1,1]
	v_pk_fma_f32 v[0:1], v[8:9], v[4:5], v[0:1] op_sel_hi:[0,1,1] neg_lo:[1,0,0] neg_hi:[1,0,0]
	v_mov_b32_e32 v3, v1
	ds_write_b64 v7, v[2:3]
	ds_write_b64 v6, v[12:13] offset:8960
	s_waitcnt lgkmcnt(0)
	s_barrier
	s_and_saveexec_b64 s[2:3], s[0:1]
	s_cbranch_execz .LBB0_26
; %bb.24:
	v_mul_lo_u32 v2, s5, v32
	v_mul_lo_u32 v3, s4, v33
	v_mad_u64_u32 v[0:1], s[0:1], s4, v32, 0
	v_add3_u32 v1, v1, v3, v2
	v_lshl_add_u32 v2, v30, 3, v78
	ds_read2_b64 v[4:7], v2 offset1:112
	v_lshl_add_u64 v[0:1], v[0:1], 3, s[6:7]
	v_mov_b32_e32 v31, v35
	v_lshl_add_u64 v[0:1], v[28:29], 3, v[0:1]
	v_lshl_add_u64 v[8:9], v[30:31], 3, v[0:1]
	v_add_u32_e32 v3, 0x400, v2
	s_waitcnt lgkmcnt(0)
	global_store_dwordx2 v[8:9], v[4:5], off
	ds_read2_b64 v[8:11], v3 offset0:96 offset1:208
	v_add_u32_e32 v34, 0x70, v30
	v_lshl_add_u64 v[4:5], v[34:35], 3, v[0:1]
	v_add_u32_e32 v34, 0xe0, v30
	global_store_dwordx2 v[4:5], v[6:7], off
	v_lshl_add_u64 v[4:5], v[34:35], 3, v[0:1]
	v_add_u32_e32 v3, 0xc00, v2
	s_waitcnt lgkmcnt(0)
	global_store_dwordx2 v[4:5], v[8:9], off
	ds_read2_b64 v[4:7], v3 offset0:64 offset1:176
	v_add_u32_e32 v34, 0x150, v30
	v_lshl_add_u64 v[8:9], v[34:35], 3, v[0:1]
	v_add_u32_e32 v34, 0x1c0, v30
	global_store_dwordx2 v[8:9], v[10:11], off
	;; [unrolled: 9-line block ×7, first 2 shown]
	v_lshl_add_u64 v[4:5], v[34:35], 3, v[0:1]
	v_add_u32_e32 v3, 0x3800, v2
	s_waitcnt lgkmcnt(0)
	global_store_dwordx2 v[4:5], v[8:9], off
	ds_read2_b64 v[4:7], v3 offset1:112
	v_add_u32_e32 v34, 0x690, v30
	v_lshl_add_u64 v[8:9], v[34:35], 3, v[0:1]
	v_add_u32_e32 v34, 0x700, v30
	global_store_dwordx2 v[8:9], v[10:11], off
	v_lshl_add_u64 v[8:9], v[34:35], 3, v[0:1]
	v_add_u32_e32 v34, 0x770, v30
	s_movk_i32 s0, 0x6f
	s_waitcnt lgkmcnt(0)
	global_store_dwordx2 v[8:9], v[4:5], off
	v_lshl_add_u64 v[4:5], v[34:35], 3, v[0:1]
	v_cmp_eq_u32_e32 vcc, s0, v30
	global_store_dwordx2 v[4:5], v[6:7], off
	s_and_b64 exec, exec, vcc
	s_cbranch_execz .LBB0_26
; %bb.25:
	ds_read_b64 v[2:3], v2 offset:15240
	v_add_co_u32_e32 v0, vcc, 0x3000, v0
	s_nop 1
	v_addc_co_u32_e32 v1, vcc, 0, v1, vcc
	s_waitcnt lgkmcnt(0)
	global_store_dwordx2 v[0:1], v[2:3], off offset:3840
.LBB0_26:
	s_endpgm
	.section	.rodata,"a",@progbits
	.p2align	6, 0x0
	.amdhsa_kernel fft_rtc_fwd_len2016_factors_2_2_2_2_2_3_3_7_wgs_224_tpt_112_halfLds_sp_op_CI_CI_unitstride_sbrr_R2C_dirReg
		.amdhsa_group_segment_fixed_size 0
		.amdhsa_private_segment_fixed_size 0
		.amdhsa_kernarg_size 104
		.amdhsa_user_sgpr_count 2
		.amdhsa_user_sgpr_dispatch_ptr 0
		.amdhsa_user_sgpr_queue_ptr 0
		.amdhsa_user_sgpr_kernarg_segment_ptr 1
		.amdhsa_user_sgpr_dispatch_id 0
		.amdhsa_user_sgpr_kernarg_preload_length 0
		.amdhsa_user_sgpr_kernarg_preload_offset 0
		.amdhsa_user_sgpr_private_segment_size 0
		.amdhsa_uses_dynamic_stack 0
		.amdhsa_enable_private_segment 0
		.amdhsa_system_sgpr_workgroup_id_x 1
		.amdhsa_system_sgpr_workgroup_id_y 0
		.amdhsa_system_sgpr_workgroup_id_z 0
		.amdhsa_system_sgpr_workgroup_info 0
		.amdhsa_system_vgpr_workitem_id 0
		.amdhsa_next_free_vgpr 130
		.amdhsa_next_free_sgpr 28
		.amdhsa_accum_offset 132
		.amdhsa_reserve_vcc 1
		.amdhsa_float_round_mode_32 0
		.amdhsa_float_round_mode_16_64 0
		.amdhsa_float_denorm_mode_32 3
		.amdhsa_float_denorm_mode_16_64 3
		.amdhsa_dx10_clamp 1
		.amdhsa_ieee_mode 1
		.amdhsa_fp16_overflow 0
		.amdhsa_tg_split 0
		.amdhsa_exception_fp_ieee_invalid_op 0
		.amdhsa_exception_fp_denorm_src 0
		.amdhsa_exception_fp_ieee_div_zero 0
		.amdhsa_exception_fp_ieee_overflow 0
		.amdhsa_exception_fp_ieee_underflow 0
		.amdhsa_exception_fp_ieee_inexact 0
		.amdhsa_exception_int_div_zero 0
	.end_amdhsa_kernel
	.text
.Lfunc_end0:
	.size	fft_rtc_fwd_len2016_factors_2_2_2_2_2_3_3_7_wgs_224_tpt_112_halfLds_sp_op_CI_CI_unitstride_sbrr_R2C_dirReg, .Lfunc_end0-fft_rtc_fwd_len2016_factors_2_2_2_2_2_3_3_7_wgs_224_tpt_112_halfLds_sp_op_CI_CI_unitstride_sbrr_R2C_dirReg
                                        ; -- End function
	.section	.AMDGPU.csdata,"",@progbits
; Kernel info:
; codeLenInByte = 13820
; NumSgprs: 34
; NumVgprs: 130
; NumAgprs: 0
; TotalNumVgprs: 130
; ScratchSize: 0
; MemoryBound: 0
; FloatMode: 240
; IeeeMode: 1
; LDSByteSize: 0 bytes/workgroup (compile time only)
; SGPRBlocks: 4
; VGPRBlocks: 16
; NumSGPRsForWavesPerEU: 34
; NumVGPRsForWavesPerEU: 130
; AccumOffset: 132
; Occupancy: 3
; WaveLimiterHint : 1
; COMPUTE_PGM_RSRC2:SCRATCH_EN: 0
; COMPUTE_PGM_RSRC2:USER_SGPR: 2
; COMPUTE_PGM_RSRC2:TRAP_HANDLER: 0
; COMPUTE_PGM_RSRC2:TGID_X_EN: 1
; COMPUTE_PGM_RSRC2:TGID_Y_EN: 0
; COMPUTE_PGM_RSRC2:TGID_Z_EN: 0
; COMPUTE_PGM_RSRC2:TIDIG_COMP_CNT: 0
; COMPUTE_PGM_RSRC3_GFX90A:ACCUM_OFFSET: 32
; COMPUTE_PGM_RSRC3_GFX90A:TG_SPLIT: 0
	.text
	.p2alignl 6, 3212836864
	.fill 256, 4, 3212836864
	.type	__hip_cuid_e94f4ceb3730c63a,@object ; @__hip_cuid_e94f4ceb3730c63a
	.section	.bss,"aw",@nobits
	.globl	__hip_cuid_e94f4ceb3730c63a
__hip_cuid_e94f4ceb3730c63a:
	.byte	0                               ; 0x0
	.size	__hip_cuid_e94f4ceb3730c63a, 1

	.ident	"AMD clang version 19.0.0git (https://github.com/RadeonOpenCompute/llvm-project roc-6.4.0 25133 c7fe45cf4b819c5991fe208aaa96edf142730f1d)"
	.section	".note.GNU-stack","",@progbits
	.addrsig
	.addrsig_sym __hip_cuid_e94f4ceb3730c63a
	.amdgpu_metadata
---
amdhsa.kernels:
  - .agpr_count:     0
    .args:
      - .actual_access:  read_only
        .address_space:  global
        .offset:         0
        .size:           8
        .value_kind:     global_buffer
      - .offset:         8
        .size:           8
        .value_kind:     by_value
      - .actual_access:  read_only
        .address_space:  global
        .offset:         16
        .size:           8
        .value_kind:     global_buffer
      - .actual_access:  read_only
        .address_space:  global
        .offset:         24
        .size:           8
        .value_kind:     global_buffer
      - .actual_access:  read_only
        .address_space:  global
        .offset:         32
        .size:           8
        .value_kind:     global_buffer
      - .offset:         40
        .size:           8
        .value_kind:     by_value
      - .actual_access:  read_only
        .address_space:  global
        .offset:         48
        .size:           8
        .value_kind:     global_buffer
      - .actual_access:  read_only
        .address_space:  global
        .offset:         56
        .size:           8
        .value_kind:     global_buffer
      - .offset:         64
        .size:           4
        .value_kind:     by_value
      - .actual_access:  read_only
        .address_space:  global
        .offset:         72
        .size:           8
        .value_kind:     global_buffer
      - .actual_access:  read_only
        .address_space:  global
        .offset:         80
        .size:           8
        .value_kind:     global_buffer
      - .actual_access:  read_only
        .address_space:  global
        .offset:         88
        .size:           8
        .value_kind:     global_buffer
      - .actual_access:  write_only
        .address_space:  global
        .offset:         96
        .size:           8
        .value_kind:     global_buffer
    .group_segment_fixed_size: 0
    .kernarg_segment_align: 8
    .kernarg_segment_size: 104
    .language:       OpenCL C
    .language_version:
      - 2
      - 0
    .max_flat_workgroup_size: 224
    .name:           fft_rtc_fwd_len2016_factors_2_2_2_2_2_3_3_7_wgs_224_tpt_112_halfLds_sp_op_CI_CI_unitstride_sbrr_R2C_dirReg
    .private_segment_fixed_size: 0
    .sgpr_count:     34
    .sgpr_spill_count: 0
    .symbol:         fft_rtc_fwd_len2016_factors_2_2_2_2_2_3_3_7_wgs_224_tpt_112_halfLds_sp_op_CI_CI_unitstride_sbrr_R2C_dirReg.kd
    .uniform_work_group_size: 1
    .uses_dynamic_stack: false
    .vgpr_count:     130
    .vgpr_spill_count: 0
    .wavefront_size: 64
amdhsa.target:   amdgcn-amd-amdhsa--gfx950
amdhsa.version:
  - 1
  - 2
...

	.end_amdgpu_metadata
